;; amdgpu-corpus repo=ROCm/rocFFT kind=compiled arch=gfx1030 opt=O3
	.text
	.amdgcn_target "amdgcn-amd-amdhsa--gfx1030"
	.amdhsa_code_object_version 6
	.protected	bluestein_single_fwd_len1280_dim1_dp_op_CI_CI ; -- Begin function bluestein_single_fwd_len1280_dim1_dp_op_CI_CI
	.globl	bluestein_single_fwd_len1280_dim1_dp_op_CI_CI
	.p2align	8
	.type	bluestein_single_fwd_len1280_dim1_dp_op_CI_CI,@function
bluestein_single_fwd_len1280_dim1_dp_op_CI_CI: ; @bluestein_single_fwd_len1280_dim1_dp_op_CI_CI
; %bb.0:
	s_load_dwordx4 s[16:19], s[4:5], 0x28
	v_mul_u32_u24_e32 v1, 0x334, v0
	s_mov_b64 s[26:27], s[2:3]
	s_mov_b64 s[24:25], s[0:1]
	v_mov_b32_e32 v5, 0
	s_add_u32 s24, s24, s7
	v_lshrrev_b32_e32 v1, 16, v1
	s_addc_u32 s25, s25, 0
	s_mov_b32 s0, exec_lo
	v_add_nc_u32_e32 v4, s6, v1
	s_waitcnt lgkmcnt(0)
	v_cmpx_gt_u64_e64 s[16:17], v[4:5]
	s_cbranch_execz .LBB0_10
; %bb.1:
	s_clause 0x1
	s_load_dwordx4 s[8:11], s[4:5], 0x18
	s_load_dwordx4 s[0:3], s[4:5], 0x0
	v_mul_lo_u16 v1, 0x50, v1
	v_mov_b32_e32 v5, v4
	s_mov_b32 s21, 0x3fed906b
	s_mov_b32 s16, 0xa6aea964
	;; [unrolled: 1-line block ×3, first 2 shown]
	v_sub_nc_u16 v64, v0, v1
	s_load_dwordx2 s[4:5], s[4:5], 0x38
	v_and_b32_e32 v255, 0xffff, v64
	v_lshlrev_b32_e32 v237, 4, v255
	v_or_b32_e32 v36, 0x280, v255
	s_waitcnt lgkmcnt(0)
	s_load_dwordx4 s[12:15], s[8:9], 0x0
	s_clause 0x1
	global_load_dwordx4 v[20:23], v237, s[0:1]
	global_load_dwordx4 v[16:19], v237, s[0:1] offset:1280
	buffer_store_dword v5, off, s[24:27], 0 offset:32 ; 4-byte Folded Spill
	buffer_store_dword v6, off, s[24:27], 0 offset:36 ; 4-byte Folded Spill
	v_add_co_u32 v121, s6, s0, v237
	v_add_co_ci_u32_e64 v122, null, s1, 0, s6
	v_lshlrev_b32_e32 v189, 4, v36
	buffer_store_dword v36, off, s[24:27], 0 offset:40 ; 4-byte Folded Spill
	s_waitcnt lgkmcnt(0)
	v_mad_u64_u32 v[0:1], null, s14, v4, 0
	v_mad_u64_u32 v[2:3], null, s12, v255, 0
	s_mul_i32 s7, s13, 0x500
	s_mul_hi_u32 s8, s12, 0x500
	s_mul_i32 s6, s12, 0x500
	s_add_i32 s7, s8, s7
	v_mad_u64_u32 v[14:15], null, s12, v36, 0
	v_mad_u64_u32 v[4:5], null, s15, v4, v[1:2]
	v_add_co_u32 v5, vcc_lo, 0x800, v121
	v_add_co_ci_u32_e32 v6, vcc_lo, 0, v122, vcc_lo
	s_mov_b32 s14, 0xcf328d46
	s_mov_b32 s15, 0xbfed906b
	v_mad_u64_u32 v[7:8], null, s13, v255, v[3:4]
	v_mov_b32_e32 v1, v4
	v_add_co_u32 v8, vcc_lo, 0x1000, v121
	v_add_co_ci_u32_e32 v9, vcc_lo, 0, v122, vcc_lo
	v_add_co_u32 v10, vcc_lo, 0x1800, v121
	v_mov_b32_e32 v3, v7
	v_lshlrev_b64 v[0:1], 4, v[0:1]
	v_add_co_ci_u32_e32 v11, vcc_lo, 0, v122, vcc_lo
	v_add_co_u32 v12, vcc_lo, 0x2000, v121
	v_add_co_ci_u32_e32 v13, vcc_lo, 0, v122, vcc_lo
	v_lshlrev_b64 v[2:3], 4, v[2:3]
	v_add_co_u32 v7, vcc_lo, s18, v0
	v_add_co_ci_u32_e32 v38, vcc_lo, s19, v1, vcc_lo
	v_mov_b32_e32 v4, v15
	v_add_co_u32 v0, vcc_lo, v7, v2
	v_add_co_ci_u32_e32 v1, vcc_lo, v38, v3, vcc_lo
	v_mad_u64_u32 v[36:37], null, s13, v36, v[4:5]
	v_add_co_u32 v24, vcc_lo, v0, s6
	v_add_co_ci_u32_e32 v25, vcc_lo, s7, v1, vcc_lo
	v_add_co_u32 v2, vcc_lo, 0x2800, v121
	v_add_co_ci_u32_e32 v3, vcc_lo, 0, v122, vcc_lo
	;; [unrolled: 2-line block ×5, first 2 shown]
	v_mov_b32_e32 v15, v36
	v_add_co_u32 v32, vcc_lo, v30, s6
	v_add_co_ci_u32_e32 v33, vcc_lo, s7, v31, vcc_lo
	v_add_co_u32 v34, vcc_lo, 0x3800, v121
	v_add_co_ci_u32_e32 v35, vcc_lo, 0, v122, vcc_lo
	;; [unrolled: 2-line block ×3, first 2 shown]
	s_clause 0x2
	global_load_dwordx4 v[60:63], v[5:6], off offset:512
	global_load_dwordx4 v[56:59], v[5:6], off offset:1792
	;; [unrolled: 1-line block ×3, first 2 shown]
	v_add_co_u32 v93, vcc_lo, v89, s6
	v_add_co_ci_u32_e32 v94, vcc_lo, s7, v90, vcc_lo
	v_lshlrev_b64 v[4:5], 4, v[14:15]
	v_add_co_u32 v97, vcc_lo, v93, s6
	v_add_co_ci_u32_e32 v98, vcc_lo, s7, v94, vcc_lo
	v_add_co_u32 v125, vcc_lo, 0x4000, v121
	v_add_co_ci_u32_e32 v126, vcc_lo, 0, v122, vcc_lo
	v_mad_u64_u32 v[101:102], null, 0xa00, s12, v[97:98]
	v_add_co_u32 v4, vcc_lo, v7, v4
	v_add_co_ci_u32_e32 v5, vcc_lo, v38, v5, vcc_lo
	s_clause 0x4
	global_load_dwordx4 v[52:55], v[10:11], off offset:256
	global_load_dwordx4 v[44:47], v[10:11], off offset:1536
	;; [unrolled: 1-line block ×3, first 2 shown]
	global_load_dwordx4 v[36:39], v189, s[0:1]
	global_load_dwordx4 v[12:15], v[2:3], off offset:1280
	v_mov_b32_e32 v6, v102
	s_mov_b32 s20, s14
	s_mov_b32 s19, 0x3fd87de2
	s_mov_b32 s18, s16
	v_mad_u64_u32 v[81:82], null, 0xa00, s13, v[6:7]
	s_clause 0x1
	global_load_dwordx4 v[65:68], v[0:1], off
	global_load_dwordx4 v[69:72], v[4:5], off
	s_clause 0x2
	global_load_dwordx4 v[8:11], v[28:29], off offset:512
	global_load_dwordx4 v[4:7], v[28:29], off offset:1792
	;; [unrolled: 1-line block ×3, first 2 shown]
	s_clause 0x1
	global_load_dwordx4 v[73:76], v[24:25], off
	global_load_dwordx4 v[77:80], v[26:27], off
	v_add_co_u32 v24, vcc_lo, v101, s6
	s_mov_b32 s13, 0x3fe6a09e
	v_mov_b32_e32 v102, v81
	s_clause 0x1
	global_load_dwordx4 v[81:84], v[30:31], off
	global_load_dwordx4 v[85:88], v[32:33], off
	;; [unrolled: 1-line block ×5, first 2 shown]
	v_add_co_ci_u32_e32 v25, vcc_lo, s7, v102, vcc_lo
	v_add_co_u32 v26, vcc_lo, v24, s6
	v_add_co_ci_u32_e32 v27, vcc_lo, s7, v25, vcc_lo
	v_add_co_u32 v28, vcc_lo, v26, s6
	;; [unrolled: 2-line block ×3, first 2 shown]
	v_add_co_ci_u32_e32 v31, vcc_lo, s7, v29, vcc_lo
	global_load_dwordx4 v[101:104], v[101:102], off
	global_load_dwordx4 v[105:108], v[24:25], off
	;; [unrolled: 1-line block ×5, first 2 shown]
	v_add_co_u32 v28, vcc_lo, v30, s6
	v_add_co_ci_u32_e32 v29, vcc_lo, s7, v31, vcc_lo
	v_add_co_u32 v32, vcc_lo, 0x4800, v121
	v_add_co_ci_u32_e32 v33, vcc_lo, 0, v122, vcc_lo
	;; [unrolled: 2-line block ×3, first 2 shown]
	global_load_dwordx4 v[24:27], v[125:126], off offset:256
	global_load_dwordx4 v[121:124], v[28:29], off
	s_clause 0x1
	global_load_dwordx4 v[28:31], v[125:126], off offset:1536
	global_load_dwordx4 v[32:35], v[32:33], off offset:768
	global_load_dwordx4 v[125:128], v[127:128], off
	s_load_dwordx4 s[8:11], s[10:11], 0x0
	s_mov_b32 s6, 0x667f3bcd
	s_mov_b32 s7, 0xbfe6a09e
	s_mov_b32 s12, s6
	v_cmp_gt_u16_e32 vcc_lo, 16, v64
	s_waitcnt vmcnt(21)
	v_mul_f64 v[129:130], v[67:68], v[22:23]
	v_mul_f64 v[131:132], v[65:66], v[22:23]
	s_waitcnt vmcnt(20)
	v_mul_f64 v[133:134], v[71:72], v[38:39]
	v_mul_f64 v[135:136], v[69:70], v[38:39]
	;; [unrolled: 3-line block ×6, first 2 shown]
	v_fma_f64 v[65:66], v[65:66], v[20:21], v[129:130]
	v_fma_f64 v[67:68], v[67:68], v[20:21], -v[131:132]
	s_waitcnt vmcnt(12)
	v_mul_f64 v[129:130], v[91:92], v[54:55]
	v_mul_f64 v[131:132], v[89:90], v[54:55]
	v_fma_f64 v[69:70], v[69:70], v[36:37], v[133:134]
	v_fma_f64 v[71:72], v[71:72], v[36:37], -v[135:136]
	s_waitcnt vmcnt(11)
	v_mul_f64 v[133:134], v[95:96], v[46:47]
	v_mul_f64 v[135:136], v[93:94], v[46:47]
	;; [unrolled: 5-line block ×5, first 2 shown]
	s_waitcnt vmcnt(7)
	v_mul_f64 v[153:154], v[111:112], v[6:7]
	v_mul_f64 v[155:156], v[109:110], v[6:7]
	s_waitcnt vmcnt(6)
	v_mul_f64 v[157:158], v[115:116], v[2:3]
	v_mul_f64 v[159:160], v[113:114], v[2:3]
	;; [unrolled: 3-line block ×5, first 2 shown]
	v_fma_f64 v[85:86], v[85:86], v[48:49], v[149:150]
	v_fma_f64 v[87:88], v[87:88], v[48:49], -v[151:152]
	v_fma_f64 v[89:90], v[89:90], v[52:53], v[129:130]
	v_fma_f64 v[91:92], v[91:92], v[52:53], -v[131:132]
	;; [unrolled: 2-line block ×11, first 2 shown]
	ds_write_b128 v237, v[65:68]
	ds_write_b128 v237, v[69:72] offset:10240
	ds_write_b128 v237, v[73:76] offset:1280
	;; [unrolled: 1-line block ×15, first 2 shown]
	s_waitcnt lgkmcnt(0)
	s_waitcnt_vscnt null, 0x0
	s_barrier
	buffer_gl0_inv
	ds_read_b128 v[65:68], v237 offset:10240
	ds_read_b128 v[69:72], v237
	ds_read_b128 v[73:76], v237 offset:5120
	ds_read_b128 v[77:80], v237 offset:15360
	;; [unrolled: 1-line block ×14, first 2 shown]
	s_waitcnt lgkmcnt(0)
	s_barrier
	buffer_gl0_inv
	v_add_f64 v[65:66], v[69:70], -v[65:66]
	v_add_f64 v[67:68], v[71:72], -v[67:68]
	;; [unrolled: 1-line block ×16, first 2 shown]
	v_fma_f64 v[69:70], v[69:70], 2.0, -v[65:66]
	v_fma_f64 v[71:72], v[71:72], 2.0, -v[67:68]
	;; [unrolled: 1-line block ×3, first 2 shown]
	v_add_f64 v[129:130], v[65:66], -v[79:80]
	v_add_f64 v[77:78], v[67:68], v[77:78]
	v_fma_f64 v[75:76], v[75:76], 2.0, -v[79:80]
	v_add_f64 v[133:134], v[87:88], v[93:94]
	v_add_f64 v[131:132], v[85:86], -v[95:96]
	v_fma_f64 v[79:80], v[81:82], 2.0, -v[85:86]
	v_fma_f64 v[81:82], v[83:84], 2.0, -v[87:88]
	v_add_f64 v[137:138], v[103:104], v[109:110]
	v_add_f64 v[135:136], v[101:102], -v[111:112]
	v_fma_f64 v[83:84], v[89:90], 2.0, -v[93:94]
	v_fma_f64 v[89:90], v[91:92], 2.0, -v[95:96]
	v_add_f64 v[139:140], v[117:118], -v[127:128]
	v_add_f64 v[141:142], v[119:120], v[125:126]
	v_fma_f64 v[91:92], v[97:98], 2.0, -v[101:102]
	v_fma_f64 v[93:94], v[99:100], 2.0, -v[103:104]
	;; [unrolled: 1-line block ×8, first 2 shown]
	v_add_f64 v[73:74], v[69:70], -v[73:74]
	v_fma_f64 v[65:66], v[65:66], 2.0, -v[129:130]
	v_fma_f64 v[67:68], v[67:68], 2.0, -v[77:78]
	v_add_f64 v[75:76], v[71:72], -v[75:76]
	v_fma_f64 v[87:88], v[87:88], 2.0, -v[133:134]
	v_fma_f64 v[85:86], v[85:86], 2.0, -v[131:132]
	v_fma_f64 v[115:116], v[131:132], s[12:13], v[129:130]
	v_fma_f64 v[103:104], v[103:104], 2.0, -v[137:138]
	v_fma_f64 v[101:102], v[101:102], 2.0, -v[135:136]
	v_add_f64 v[83:84], v[79:80], -v[83:84]
	v_add_f64 v[89:90], v[81:82], -v[89:90]
	v_fma_f64 v[111:112], v[117:118], 2.0, -v[139:140]
	v_fma_f64 v[113:114], v[119:120], 2.0, -v[141:142]
	v_fma_f64 v[117:118], v[133:134], s[12:13], v[77:78]
	v_fma_f64 v[119:120], v[139:140], s[12:13], v[135:136]
	v_add_f64 v[95:96], v[91:92], -v[95:96]
	v_add_f64 v[97:98], v[93:94], -v[97:98]
	v_fma_f64 v[121:122], v[141:142], s[12:13], v[137:138]
	v_add_f64 v[107:108], v[99:100], -v[107:108]
	v_add_f64 v[109:110], v[105:106], -v[109:110]
	v_fma_f64 v[69:70], v[69:70], 2.0, -v[73:74]
	v_fma_f64 v[71:72], v[71:72], 2.0, -v[75:76]
	v_fma_f64 v[125:126], v[87:88], s[6:7], v[67:68]
	v_fma_f64 v[123:124], v[85:86], s[6:7], v[65:66]
	;; [unrolled: 1-line block ×3, first 2 shown]
	v_fma_f64 v[79:80], v[79:80], 2.0, -v[83:84]
	v_fma_f64 v[81:82], v[81:82], 2.0, -v[89:90]
	v_fma_f64 v[127:128], v[111:112], s[6:7], v[101:102]
	v_fma_f64 v[143:144], v[113:114], s[6:7], v[103:104]
	v_add_f64 v[145:146], v[73:74], -v[89:90]
	v_add_f64 v[147:148], v[75:76], v[83:84]
	v_fma_f64 v[91:92], v[91:92], 2.0, -v[95:96]
	v_fma_f64 v[93:94], v[93:94], 2.0, -v[97:98]
	v_fma_f64 v[117:118], v[131:132], s[12:13], v[117:118]
	v_fma_f64 v[119:120], v[141:142], s[6:7], v[119:120]
	v_fma_f64 v[83:84], v[99:100], 2.0, -v[107:108]
	v_fma_f64 v[89:90], v[105:106], 2.0, -v[109:110]
	v_add_f64 v[99:100], v[95:96], -v[109:110]
	v_add_f64 v[105:106], v[97:98], v[107:108]
	v_fma_f64 v[107:108], v[139:140], s[12:13], v[121:122]
	v_fma_f64 v[133:134], v[85:86], s[12:13], v[125:126]
	v_fma_f64 v[131:132], v[87:88], s[6:7], v[123:124]
	v_add_f64 v[121:122], v[71:72], -v[81:82]
	v_fma_f64 v[87:88], v[113:114], s[6:7], v[127:128]
	v_fma_f64 v[85:86], v[111:112], s[12:13], v[143:144]
	v_add_f64 v[112:113], v[69:70], -v[79:80]
	v_fma_f64 v[123:124], v[73:74], 2.0, -v[145:146]
	v_fma_f64 v[125:126], v[75:76], 2.0, -v[147:148]
	;; [unrolled: 1-line block ×4, first 2 shown]
	v_add_f64 v[73:74], v[91:92], -v[83:84]
	v_add_f64 v[75:76], v[93:94], -v[89:90]
	v_fma_f64 v[79:80], v[95:96], 2.0, -v[99:100]
	v_fma_f64 v[77:78], v[97:98], 2.0, -v[105:106]
	;; [unrolled: 1-line block ×6, first 2 shown]
	v_fma_f64 v[97:98], v[99:100], s[12:13], v[145:146]
	v_fma_f64 v[110:111], v[107:108], s[20:21], v[117:118]
	v_fma_f64 v[141:142], v[71:72], 2.0, -v[121:122]
	v_fma_f64 v[95:96], v[101:102], 2.0, -v[87:88]
	;; [unrolled: 1-line block ×3, first 2 shown]
	v_fma_f64 v[101:102], v[105:106], s[12:13], v[147:148]
	v_fma_f64 v[103:104], v[119:120], s[20:21], v[115:116]
	v_fma_f64 v[139:140], v[69:70], 2.0, -v[112:113]
	v_fma_f64 v[155:156], v[87:88], s[18:19], v[131:132]
	v_fma_f64 v[157:158], v[85:86], s[18:19], v[133:134]
	v_fma_f64 v[91:92], v[91:92], 2.0, -v[73:74]
	v_fma_f64 v[93:94], v[93:94], 2.0, -v[75:76]
	v_fma_f64 v[143:144], v[79:80], s[6:7], v[123:124]
	v_fma_f64 v[149:150], v[77:78], s[6:7], v[125:126]
	;; [unrolled: 1-line block ×4, first 2 shown]
	v_add_f64 v[65:66], v[112:113], -v[75:76]
	v_add_f64 v[67:68], v[121:122], v[73:74]
	v_fma_f64 v[69:70], v[105:106], s[6:7], v[97:98]
	v_fma_f64 v[110:111], v[119:120], s[18:19], v[110:111]
	v_mov_b32_e32 v105, 4
	v_lshlrev_b16 v106, 4, v64
	v_fma_f64 v[159:160], v[95:96], s[14:15], v[135:136]
	v_fma_f64 v[161:162], v[89:90], s[14:15], v[137:138]
	;; [unrolled: 1-line block ×4, first 2 shown]
	v_lshlrev_b32_sdwa v188, v105, v106 dst_sel:DWORD dst_unused:UNUSED_PAD src0_sel:DWORD src1_sel:WORD_0
	v_fma_f64 v[85:86], v[85:86], s[14:15], v[155:156]
	v_fma_f64 v[87:88], v[87:88], s[20:21], v[157:158]
                                        ; implicit-def: $vgpr156_vgpr157
	v_add_f64 v[73:74], v[139:140], -v[91:92]
	v_add_f64 v[75:76], v[141:142], -v[93:94]
	v_fma_f64 v[77:78], v[77:78], s[6:7], v[143:144]
	v_fma_f64 v[79:80], v[79:80], s[12:13], v[149:150]
	;; [unrolled: 1-line block ×4, first 2 shown]
	v_fma_f64 v[93:94], v[112:113], 2.0, -v[65:66]
                                        ; implicit-def: $vgpr152_vgpr153
	v_fma_f64 v[97:98], v[145:146], 2.0, -v[69:70]
	v_fma_f64 v[103:104], v[117:118], 2.0, -v[110:111]
	v_fma_f64 v[89:90], v[89:90], s[16:17], v[159:160]
	v_fma_f64 v[91:92], v[95:96], s[18:19], v[161:162]
	v_fma_f64 v[95:96], v[121:122], 2.0, -v[67:68]
	v_fma_f64 v[99:100], v[147:148], 2.0, -v[71:72]
	;; [unrolled: 1-line block ×13, first 2 shown]
	ds_write_b128 v188, v[65:68] offset:192
	ds_write_b128 v188, v[69:72] offset:224
	;; [unrolled: 1-line block ×10, first 2 shown]
	ds_write_b128 v188, v[112:115]
	ds_write_b128 v188, v[116:119] offset:32
	ds_write_b128 v188, v[120:123] offset:48
	;; [unrolled: 1-line block ×5, first 2 shown]
	s_waitcnt lgkmcnt(0)
	s_barrier
	buffer_gl0_inv
	ds_read_b128 v[100:103], v237
	ds_read_b128 v[96:99], v237 offset:1280
	ds_read_b128 v[76:79], v237 offset:8192
	;; [unrolled: 1-line block ×14, first 2 shown]
                                        ; implicit-def: $vgpr136_vgpr137
                                        ; implicit-def: $vgpr104_vgpr105
	s_and_saveexec_b32 s6, vcc_lo
	s_cbranch_execz .LBB0_3
; %bb.2:
	ds_read_b128 v[108:111], v237 offset:3840
	ds_read_b128 v[136:139], v237 offset:7936
	;; [unrolled: 1-line block ×5, first 2 shown]
.LBB0_3:
	s_or_b32 exec_lo, exec_lo, s6
	v_lshlrev_b32_e32 v64, 6, v255
	v_and_b32_e32 v190, 15, v255
	s_mov_b32 s16, 0x134454ff
	s_mov_b32 s17, 0x3fee6f0e
	;; [unrolled: 1-line block ×3, first 2 shown]
	v_and_b32_e32 v184, 0x3c0, v64
	v_lshlrev_b32_e32 v64, 6, v190
	s_mov_b32 s14, s16
	s_mov_b32 s6, 0x4755a5e
	;; [unrolled: 1-line block ×3, first 2 shown]
	s_clause 0x1
	global_load_dwordx2 v[235:236], v64, s[2:3]
	global_load_dwordx4 v[64:67], v184, s[2:3]
	s_mov_b32 s13, 0xbfe2cf23
	s_mov_b32 s12, s6
	;; [unrolled: 1-line block ×4, first 2 shown]
	s_waitcnt vmcnt(0) lgkmcnt(8)
	v_mul_f64 v[72:73], v[70:71], v[66:67]
	v_fma_f64 v[160:161], v[68:69], v[235:236], -v[72:73]
	v_mul_f64 v[68:69], v[68:69], v[66:67]
	v_fma_f64 v[162:163], v[70:71], v[235:236], v[68:69]
	s_clause 0x1
	global_load_dwordx4 v[68:71], v184, s[2:3] offset:16
	global_load_dwordx4 v[72:75], v184, s[2:3] offset:8
	s_waitcnt vmcnt(1)
	v_mul_f64 v[80:81], v[78:79], v[70:71]
	s_waitcnt vmcnt(0)
	v_fma_f64 v[164:165], v[76:77], v[74:75], -v[80:81]
	v_mul_f64 v[76:77], v[76:77], v[70:71]
	v_fma_f64 v[166:167], v[78:79], v[74:75], v[76:77]
	s_clause 0x1
	global_load_dwordx4 v[76:79], v184, s[2:3] offset:32
	global_load_dwordx4 v[80:83], v184, s[2:3] offset:24
	s_waitcnt vmcnt(1) lgkmcnt(4)
	v_mul_f64 v[88:89], v[86:87], v[78:79]
	s_waitcnt vmcnt(0)
	v_fma_f64 v[168:169], v[84:85], v[82:83], -v[88:89]
	v_mul_f64 v[84:85], v[84:85], v[78:79]
	v_fma_f64 v[170:171], v[86:87], v[82:83], v[84:85]
	s_clause 0x1
	global_load_dwordx4 v[84:87], v184, s[2:3] offset:48
	global_load_dwordx4 v[88:91], v184, s[2:3] offset:40
	s_waitcnt vmcnt(1)
	v_mul_f64 v[172:173], v[146:147], v[86:87]
	s_waitcnt vmcnt(0)
	v_fma_f64 v[191:192], v[144:145], v[90:91], -v[172:173]
	v_mul_f64 v[144:145], v[144:145], v[86:87]
	v_fma_f64 v[144:145], v[146:147], v[90:91], v[144:145]
	v_mul_f64 v[146:147], v[150:151], v[66:67]
	v_fma_f64 v[193:194], v[148:149], v[235:236], -v[146:147]
	v_mul_f64 v[146:147], v[148:149], v[66:67]
	v_add_f64 v[148:149], v[164:165], -v[168:169]
	v_fma_f64 v[195:196], v[150:151], v[235:236], v[146:147]
	v_mul_f64 v[146:147], v[134:135], v[70:71]
	v_add_f64 v[150:151], v[168:169], -v[191:192]
	v_fma_f64 v[197:198], v[132:133], v[74:75], -v[146:147]
	v_mul_f64 v[132:133], v[132:133], v[70:71]
	v_add_f64 v[146:147], v[160:161], -v[191:192]
	v_fma_f64 v[199:200], v[134:135], v[74:75], v[132:133]
	s_waitcnt lgkmcnt(2)
	v_mul_f64 v[132:133], v[142:143], v[78:79]
	v_fma_f64 v[201:202], v[140:141], v[82:83], -v[132:133]
	v_mul_f64 v[132:133], v[140:141], v[78:79]
	v_fma_f64 v[203:204], v[142:143], v[82:83], v[132:133]
	v_mul_f64 v[132:133], v[126:127], v[86:87]
	v_fma_f64 v[205:206], v[124:125], v[90:91], -v[132:133]
	v_mul_f64 v[124:125], v[124:125], v[86:87]
	v_fma_f64 v[124:125], v[126:127], v[90:91], v[124:125]
	v_mul_f64 v[126:127], v[130:131], v[66:67]
	v_fma_f64 v[126:127], v[128:129], v[235:236], -v[126:127]
	v_mul_f64 v[128:129], v[128:129], v[66:67]
	v_fma_f64 v[128:129], v[130:131], v[235:236], v[128:129]
	v_mul_f64 v[130:131], v[122:123], v[70:71]
	v_fma_f64 v[130:131], v[120:121], v[74:75], -v[130:131]
	v_mul_f64 v[120:121], v[120:121], v[70:71]
	v_fma_f64 v[120:121], v[122:123], v[74:75], v[120:121]
	s_waitcnt lgkmcnt(1)
	v_mul_f64 v[122:123], v[118:119], v[78:79]
	v_fma_f64 v[122:123], v[116:117], v[82:83], -v[122:123]
	v_mul_f64 v[116:117], v[116:117], v[78:79]
	v_fma_f64 v[207:208], v[118:119], v[82:83], v[116:117]
	s_waitcnt lgkmcnt(0)
	v_mul_f64 v[116:117], v[114:115], v[86:87]
	v_add_f64 v[118:119], v[166:167], -v[170:171]
	v_fma_f64 v[209:210], v[112:113], v[90:91], -v[116:117]
	v_mul_f64 v[112:113], v[112:113], v[86:87]
	v_add_f64 v[116:117], v[162:163], -v[144:145]
	v_fma_f64 v[211:212], v[114:115], v[90:91], v[112:113]
	global_load_dwordx2 v[114:115], v184, s[2:3] offset:56
	v_mul_f64 v[112:113], v[138:139], v[72:73]
	v_fma_f64 v[172:173], v[136:137], v[64:65], -v[112:113]
	v_mul_f64 v[112:113], v[136:137], v[72:73]
	v_fma_f64 v[182:183], v[138:139], v[64:65], v[112:113]
	v_mul_f64 v[112:113], v[154:155], v[80:81]
	v_fma_f64 v[174:175], v[152:153], v[68:69], -v[112:113]
	v_mul_f64 v[112:113], v[152:153], v[80:81]
	v_fma_f64 v[178:179], v[154:155], v[68:69], v[112:113]
	v_mul_f64 v[112:113], v[158:159], v[88:89]
	v_fma_f64 v[176:177], v[156:157], v[76:77], -v[112:113]
	v_mul_f64 v[112:113], v[156:157], v[88:89]
	v_fma_f64 v[180:181], v[158:159], v[76:77], v[112:113]
	s_waitcnt vmcnt(0)
	v_mul_f64 v[112:113], v[106:107], v[114:115]
	buffer_store_dword v114, off, s[24:27], 0 offset:44 ; 4-byte Folded Spill
	buffer_store_dword v115, off, s[24:27], 0 offset:48 ; 4-byte Folded Spill
	v_fma_f64 v[184:185], v[104:105], v[84:85], -v[112:113]
	v_add_f64 v[112:113], v[144:145], -v[170:171]
	v_mul_f64 v[104:105], v[104:105], v[114:115]
	v_add_f64 v[114:115], v[166:167], v[170:171]
	v_fma_f64 v[186:187], v[106:107], v[84:85], v[104:105]
	v_add_f64 v[104:105], v[160:161], -v[164:165]
	v_add_f64 v[106:107], v[191:192], -v[168:169]
	v_fma_f64 v[114:115], v[114:115], -0.5, v[102:103]
	v_add_f64 v[104:105], v[104:105], v[106:107]
	v_add_f64 v[106:107], v[162:163], -v[166:167]
	v_fma_f64 v[134:135], v[146:147], s[14:15], v[114:115]
	v_fma_f64 v[114:115], v[146:147], s[16:17], v[114:115]
	v_add_f64 v[106:107], v[106:107], v[112:113]
	v_add_f64 v[112:113], v[164:165], v[168:169]
	v_fma_f64 v[134:135], v[148:149], s[12:13], v[134:135]
	v_fma_f64 v[114:115], v[148:149], s[6:7], v[114:115]
	v_fma_f64 v[112:113], v[112:113], -0.5, v[100:101]
	v_fma_f64 v[134:135], v[106:107], s[18:19], v[134:135]
	v_fma_f64 v[138:139], v[106:107], s[18:19], v[114:115]
	v_add_f64 v[106:107], v[162:163], v[144:145]
	v_add_f64 v[114:115], v[166:167], -v[162:163]
	v_fma_f64 v[132:133], v[116:117], s[16:17], v[112:113]
	v_fma_f64 v[112:113], v[116:117], s[14:15], v[112:113]
	v_fma_f64 v[106:107], v[106:107], -0.5, v[102:103]
	v_add_f64 v[102:103], v[102:103], v[162:163]
	v_fma_f64 v[132:133], v[118:119], s[6:7], v[132:133]
	v_fma_f64 v[112:113], v[118:119], s[12:13], v[112:113]
	v_add_f64 v[102:103], v[102:103], v[166:167]
	v_fma_f64 v[132:133], v[104:105], s[18:19], v[132:133]
	v_fma_f64 v[136:137], v[104:105], s[18:19], v[112:113]
	v_add_f64 v[104:105], v[160:161], v[191:192]
	v_add_f64 v[112:113], v[164:165], -v[160:161]
	v_add_f64 v[102:103], v[102:103], v[170:171]
	v_fma_f64 v[104:105], v[104:105], -0.5, v[100:101]
	v_add_f64 v[100:101], v[100:101], v[160:161]
	v_add_f64 v[142:143], v[102:103], v[144:145]
	;; [unrolled: 1-line block ×3, first 2 shown]
	v_fma_f64 v[102:103], v[118:119], s[14:15], v[104:105]
	v_add_f64 v[100:101], v[100:101], v[164:165]
	v_fma_f64 v[104:105], v[118:119], s[16:17], v[104:105]
	v_fma_f64 v[118:119], v[148:149], s[16:17], v[106:107]
	;; [unrolled: 1-line block ×3, first 2 shown]
	v_add_f64 v[164:165], v[197:198], -v[201:202]
	v_fma_f64 v[102:103], v[116:117], s[6:7], v[102:103]
	v_add_f64 v[100:101], v[100:101], v[168:169]
	v_fma_f64 v[104:105], v[116:117], s[12:13], v[104:105]
	v_fma_f64 v[106:107], v[146:147], s[6:7], v[106:107]
	v_add_f64 v[140:141], v[100:101], v[191:192]
	v_add_f64 v[100:101], v[170:171], -v[144:145]
	v_fma_f64 v[144:145], v[112:113], s[18:19], v[102:103]
	v_add_f64 v[102:103], v[205:206], -v[201:202]
	v_fma_f64 v[148:149], v[112:113], s[18:19], v[104:105]
	v_add_f64 v[104:105], v[124:125], -v[203:204]
	v_add_f64 v[112:113], v[195:196], -v[124:125]
	;; [unrolled: 1-line block ×3, first 2 shown]
	v_add_f64 v[100:101], v[114:115], v[100:101]
	v_fma_f64 v[114:115], v[146:147], s[12:13], v[118:119]
	v_add_f64 v[118:119], v[193:194], -v[205:206]
	v_fma_f64 v[150:151], v[100:101], s[18:19], v[106:107]
	v_fma_f64 v[146:147], v[100:101], s[18:19], v[114:115]
	v_add_f64 v[100:101], v[193:194], -v[197:198]
	v_add_f64 v[106:107], v[199:200], v[203:204]
	v_add_f64 v[114:115], v[199:200], -v[203:204]
	v_add_f64 v[100:101], v[100:101], v[102:103]
	v_add_f64 v[102:103], v[195:196], -v[199:200]
	v_fma_f64 v[106:107], v[106:107], -0.5, v[98:99]
	v_add_f64 v[102:103], v[102:103], v[104:105]
	v_add_f64 v[104:105], v[197:198], v[201:202]
	v_fma_f64 v[152:153], v[118:119], s[14:15], v[106:107]
	v_fma_f64 v[106:107], v[118:119], s[16:17], v[106:107]
	v_fma_f64 v[104:105], v[104:105], -0.5, v[96:97]
	v_fma_f64 v[154:155], v[164:165], s[12:13], v[152:153]
	v_fma_f64 v[106:107], v[164:165], s[6:7], v[106:107]
	;; [unrolled: 1-line block ×6, first 2 shown]
	v_add_f64 v[102:103], v[195:196], v[124:125]
	v_add_f64 v[106:107], v[199:200], -v[195:196]
	v_fma_f64 v[116:117], v[114:115], s[6:7], v[116:117]
	v_fma_f64 v[104:105], v[114:115], s[12:13], v[104:105]
	v_fma_f64 v[102:103], v[102:103], -0.5, v[98:99]
	v_add_f64 v[98:99], v[98:99], v[195:196]
	v_fma_f64 v[152:153], v[100:101], s[18:19], v[116:117]
	v_fma_f64 v[156:157], v[100:101], s[18:19], v[104:105]
	v_add_f64 v[100:101], v[193:194], v[205:206]
	v_add_f64 v[104:105], v[197:198], -v[193:194]
	v_add_f64 v[116:117], v[201:202], -v[205:206]
	v_add_f64 v[98:99], v[98:99], v[199:200]
	v_add_f64 v[199:200], v[180:181], -v[186:187]
	v_fma_f64 v[100:101], v[100:101], -0.5, v[96:97]
	v_add_f64 v[96:97], v[96:97], v[193:194]
	v_add_f64 v[104:105], v[104:105], v[116:117]
	;; [unrolled: 1-line block ×3, first 2 shown]
	v_add_f64 v[193:194], v[174:175], -v[176:177]
	v_add_f64 v[96:97], v[96:97], v[197:198]
	v_add_f64 v[162:163], v[98:99], v[124:125]
	v_fma_f64 v[98:99], v[114:115], s[14:15], v[100:101]
	v_fma_f64 v[100:101], v[114:115], s[16:17], v[100:101]
	;; [unrolled: 1-line block ×4, first 2 shown]
	v_add_f64 v[96:97], v[96:97], v[201:202]
	v_fma_f64 v[98:99], v[112:113], s[6:7], v[98:99]
	v_fma_f64 v[100:101], v[112:113], s[12:13], v[100:101]
	;; [unrolled: 1-line block ×3, first 2 shown]
	v_add_f64 v[160:161], v[96:97], v[205:206]
	v_add_f64 v[96:97], v[203:204], -v[124:125]
	v_add_f64 v[124:125], v[126:127], -v[209:210]
	v_fma_f64 v[164:165], v[104:105], s[18:19], v[98:99]
	v_add_f64 v[98:99], v[209:210], -v[122:123]
	v_fma_f64 v[168:169], v[104:105], s[18:19], v[100:101]
	v_add_f64 v[100:101], v[211:212], -v[207:208]
	v_add_f64 v[104:105], v[128:129], -v[211:212]
	v_add_f64 v[96:97], v[106:107], v[96:97]
	v_fma_f64 v[106:107], v[118:119], s[12:13], v[114:115]
	v_fma_f64 v[170:171], v[96:97], s[18:19], v[102:103]
	;; [unrolled: 1-line block ×3, first 2 shown]
	v_add_f64 v[96:97], v[126:127], -v[130:131]
	v_add_f64 v[102:103], v[120:121], v[207:208]
	v_add_f64 v[106:107], v[120:121], -v[207:208]
	v_add_f64 v[96:97], v[96:97], v[98:99]
	v_add_f64 v[98:99], v[128:129], -v[120:121]
	v_fma_f64 v[102:103], v[102:103], -0.5, v[94:95]
	v_add_f64 v[98:99], v[98:99], v[100:101]
	v_add_f64 v[100:101], v[130:131], v[122:123]
	v_fma_f64 v[114:115], v[124:125], s[14:15], v[102:103]
	v_fma_f64 v[102:103], v[124:125], s[16:17], v[102:103]
	v_fma_f64 v[100:101], v[100:101], -0.5, v[92:93]
	v_fma_f64 v[114:115], v[191:192], s[12:13], v[114:115]
	v_fma_f64 v[102:103], v[191:192], s[6:7], v[102:103]
	v_fma_f64 v[112:113], v[104:105], s[16:17], v[100:101]
	v_fma_f64 v[100:101], v[104:105], s[14:15], v[100:101]
	v_fma_f64 v[118:119], v[98:99], s[18:19], v[114:115]
	v_fma_f64 v[114:115], v[98:99], s[18:19], v[102:103]
	v_add_f64 v[98:99], v[128:129], v[211:212]
	v_add_f64 v[102:103], v[120:121], -v[128:129]
	v_fma_f64 v[112:113], v[106:107], s[6:7], v[112:113]
	v_fma_f64 v[100:101], v[106:107], s[12:13], v[100:101]
	v_fma_f64 v[98:99], v[98:99], -0.5, v[94:95]
	v_add_f64 v[94:95], v[94:95], v[128:129]
	v_fma_f64 v[116:117], v[96:97], s[18:19], v[112:113]
	v_fma_f64 v[112:113], v[96:97], s[18:19], v[100:101]
	v_add_f64 v[96:97], v[126:127], v[209:210]
	v_add_f64 v[100:101], v[130:131], -v[126:127]
	v_add_f64 v[94:95], v[94:95], v[120:121]
	v_fma_f64 v[96:97], v[96:97], -0.5, v[92:93]
	v_add_f64 v[92:93], v[92:93], v[126:127]
	v_add_f64 v[126:127], v[122:123], -v[209:210]
	v_add_f64 v[94:95], v[94:95], v[207:208]
	v_add_f64 v[92:93], v[92:93], v[130:131]
	;; [unrolled: 1-line block ×5, first 2 shown]
	v_fma_f64 v[94:95], v[106:107], s[14:15], v[96:97]
	v_fma_f64 v[96:97], v[106:107], s[16:17], v[96:97]
	v_fma_f64 v[106:107], v[191:192], s[16:17], v[98:99]
	v_fma_f64 v[98:99], v[191:192], s[14:15], v[98:99]
	v_add_f64 v[191:192], v[172:173], -v[184:185]
	v_add_f64 v[120:121], v[92:93], v[209:210]
	v_add_f64 v[92:93], v[207:208], -v[211:212]
	v_fma_f64 v[94:95], v[104:105], s[6:7], v[94:95]
	v_fma_f64 v[96:97], v[104:105], s[12:13], v[96:97]
	v_add_f64 v[104:105], v[182:183], -v[186:187]
	v_fma_f64 v[98:99], v[124:125], s[6:7], v[98:99]
	v_add_f64 v[92:93], v[102:103], v[92:93]
	v_fma_f64 v[102:103], v[124:125], s[12:13], v[106:107]
	v_fma_f64 v[128:129], v[100:101], s[18:19], v[94:95]
	v_add_f64 v[94:95], v[184:185], -v[176:177]
	v_fma_f64 v[124:125], v[100:101], s[18:19], v[96:97]
	v_add_f64 v[106:107], v[178:179], -v[180:181]
	v_fma_f64 v[126:127], v[92:93], s[18:19], v[98:99]
	v_fma_f64 v[130:131], v[92:93], s[18:19], v[102:103]
	v_add_f64 v[92:93], v[172:173], -v[174:175]
	v_add_f64 v[96:97], v[92:93], v[94:95]
	v_add_f64 v[92:93], v[182:183], -v[178:179]
	v_add_f64 v[94:95], v[186:187], -v[180:181]
	v_add_f64 v[98:99], v[92:93], v[94:95]
	v_add_f64 v[92:93], v[174:175], v[176:177]
	v_fma_f64 v[100:101], v[92:93], -0.5, v[108:109]
	v_add_f64 v[92:93], v[178:179], v[180:181]
	v_fma_f64 v[102:103], v[92:93], -0.5, v[110:111]
	v_fma_f64 v[92:93], v[104:105], s[16:17], v[100:101]
	v_fma_f64 v[100:101], v[104:105], s[14:15], v[100:101]
	;; [unrolled: 1-line block ×10, first 2 shown]
	buffer_store_dword v92, off, s[24:27], 0 ; 4-byte Folded Spill
	buffer_store_dword v93, off, s[24:27], 0 offset:4 ; 4-byte Folded Spill
	buffer_store_dword v94, off, s[24:27], 0 offset:8 ; 4-byte Folded Spill
	;; [unrolled: 1-line block ×3, first 2 shown]
	v_fma_f64 v[92:93], v[96:97], s[18:19], v[100:101]
	v_fma_f64 v[94:95], v[98:99], s[18:19], v[102:103]
	v_add_f64 v[100:101], v[174:175], -v[172:173]
	v_add_f64 v[102:103], v[176:177], -v[184:185]
	buffer_store_dword v92, off, s[24:27], 0 offset:16 ; 4-byte Folded Spill
	buffer_store_dword v93, off, s[24:27], 0 offset:20 ; 4-byte Folded Spill
	buffer_store_dword v94, off, s[24:27], 0 offset:24 ; 4-byte Folded Spill
	buffer_store_dword v95, off, s[24:27], 0 offset:28 ; 4-byte Folded Spill
	v_lshrrev_b32_e32 v92, 4, v255
	v_add_f64 v[195:196], v[100:101], v[102:103]
	v_add_f64 v[100:101], v[172:173], v[184:185]
	s_waitcnt_vscnt null, 0x0
	s_barrier
	v_mul_u32_u24_e32 v92, 0x50, v92
	buffer_gl0_inv
	v_or_b32_e32 v92, v92, v190
	v_lshlrev_b32_e32 v241, 4, v92
	v_add_nc_u32_e32 v92, 0x50, v255
	ds_write_b128 v241, v[140:143]
	ds_write_b128 v241, v[132:135] offset:256
	ds_write_b128 v241, v[144:147] offset:512
	;; [unrolled: 1-line block ×4, first 2 shown]
	v_lshrrev_b32_e32 v92, 4, v92
	v_fma_f64 v[100:101], v[100:101], -0.5, v[108:109]
	v_mul_u32_u24_e32 v92, 0x50, v92
	v_or_b32_e32 v92, v92, v190
	v_lshlrev_b32_e32 v240, 4, v92
	v_add_nc_u32_e32 v92, 0xa0, v255
	ds_write_b128 v240, v[160:163]
	ds_write_b128 v240, v[152:155] offset:256
	ds_write_b128 v240, v[164:167] offset:512
	;; [unrolled: 1-line block ×4, first 2 shown]
	v_lshrrev_b32_e32 v92, 4, v92
	v_fma_f64 v[102:103], v[106:107], s[14:15], v[100:101]
	v_fma_f64 v[100:101], v[106:107], s[16:17], v[100:101]
	v_add_f64 v[106:107], v[182:183], v[186:187]
	v_mul_u32_u24_e32 v92, 0x50, v92
	v_or_b32_e32 v92, v92, v190
	v_lshlrev_b32_e32 v242, 4, v92
	ds_write_b128 v242, v[120:123]
	ds_write_b128 v242, v[116:119] offset:256
	ds_write_b128 v242, v[128:131] offset:512
	;; [unrolled: 1-line block ×4, first 2 shown]
	v_fma_f64 v[102:103], v[104:105], s[6:7], v[102:103]
	v_fma_f64 v[104:105], v[104:105], s[12:13], v[100:101]
	v_fma_f64 v[106:107], v[106:107], -0.5, v[110:111]
	v_fma_f64 v[100:101], v[195:196], s[18:19], v[102:103]
	v_fma_f64 v[104:105], v[195:196], s[18:19], v[104:105]
	;; [unrolled: 1-line block ×4, first 2 shown]
	v_add_f64 v[193:194], v[178:179], -v[182:183]
	v_fma_f64 v[197:198], v[191:192], s[12:13], v[197:198]
	v_fma_f64 v[106:107], v[191:192], s[6:7], v[106:107]
	v_add_f64 v[193:194], v[193:194], v[199:200]
	v_fma_f64 v[102:103], v[193:194], s[18:19], v[197:198]
	v_fma_f64 v[106:107], v[193:194], s[18:19], v[106:107]
	s_and_saveexec_b32 s6, vcc_lo
	s_cbranch_execz .LBB0_5
; %bb.4:
	s_clause 0x3
	buffer_load_dword v92, off, s[24:27], 0
	buffer_load_dword v93, off, s[24:27], 0 offset:4
	buffer_load_dword v94, off, s[24:27], 0 offset:8
	;; [unrolled: 1-line block ×3, first 2 shown]
	v_add_f64 v[110:111], v[110:111], v[182:183]
	v_add_f64 v[108:109], v[108:109], v[172:173]
	;; [unrolled: 1-line block ×8, first 2 shown]
	s_waitcnt vmcnt(0)
	ds_write_b128 v237, v[92:95] offset:19456
	ds_write_b128 v237, v[100:103] offset:19712
	;; [unrolled: 1-line block ×4, first 2 shown]
	s_clause 0x3
	buffer_load_dword v92, off, s[24:27], 0 offset:16
	buffer_load_dword v93, off, s[24:27], 0 offset:20
	;; [unrolled: 1-line block ×4, first 2 shown]
	s_waitcnt vmcnt(0)
	ds_write_b128 v237, v[92:95] offset:20224
.LBB0_5:
	s_or_b32 exec_lo, exec_lo, s6
	v_mad_u64_u32 v[190:191], null, 0xf0, v255, s[2:3]
	s_waitcnt lgkmcnt(0)
	s_barrier
	buffer_gl0_inv
	ds_read_b128 v[168:171], v237
	ds_read_b128 v[120:123], v237 offset:1280
	ds_read_b128 v[124:127], v237 offset:2560
	ds_read_b128 v[128:131], v237 offset:3840
	ds_read_b128 v[136:139], v237 offset:5120
	ds_read_b128 v[140:143], v237 offset:6400
	ds_read_b128 v[144:147], v237 offset:7680
	ds_read_b128 v[148:151], v237 offset:8960
	ds_read_b128 v[152:155], v237 offset:10240
	ds_read_b128 v[164:167], v237 offset:11520
	ds_read_b128 v[184:187], v237 offset:12800
	ds_read_b128 v[160:163], v237 offset:14080
	ds_read_b128 v[156:159], v237 offset:15360
	ds_read_b128 v[180:183], v237 offset:16640
	ds_read_b128 v[176:179], v237 offset:17920
	ds_read_b128 v[172:175], v237 offset:19200
	s_mov_b32 s2, 0x667f3bcd
	s_mov_b32 s3, 0xbfe6a09e
	s_clause 0x3
	global_load_dwordx4 v[112:115], v[190:191], off offset:1072
	global_load_dwordx4 v[108:111], v[190:191], off offset:1056
	;; [unrolled: 1-line block ×4, first 2 shown]
	s_mov_b32 s7, 0x3fe6a09e
	s_mov_b32 s6, s2
	;; [unrolled: 1-line block ×10, first 2 shown]
	s_add_u32 s20, s0, 0x5000
	s_addc_u32 s21, s1, 0
	s_waitcnt vmcnt(0) lgkmcnt(14)
	v_mul_f64 v[192:193], v[122:123], v[134:135]
	v_fma_f64 v[192:193], v[120:121], v[132:133], -v[192:193]
	v_mul_f64 v[120:121], v[120:121], v[134:135]
	v_fma_f64 v[194:195], v[122:123], v[132:133], v[120:121]
	s_waitcnt lgkmcnt(13)
	v_mul_f64 v[120:121], v[126:127], v[118:119]
	v_fma_f64 v[196:197], v[124:125], v[116:117], -v[120:121]
	v_mul_f64 v[120:121], v[124:125], v[118:119]
	v_fma_f64 v[198:199], v[126:127], v[116:117], v[120:121]
	s_waitcnt lgkmcnt(12)
	;; [unrolled: 5-line block ×3, first 2 shown]
	v_mul_f64 v[120:121], v[138:139], v[114:115]
	v_fma_f64 v[204:205], v[136:137], v[112:113], -v[120:121]
	v_mul_f64 v[120:121], v[136:137], v[114:115]
	v_fma_f64 v[206:207], v[138:139], v[112:113], v[120:121]
	s_clause 0x3
	global_load_dwordx4 v[124:127], v[190:191], off offset:1136
	global_load_dwordx4 v[120:123], v[190:191], off offset:1120
	;; [unrolled: 1-line block ×4, first 2 shown]
	s_waitcnt vmcnt(0) lgkmcnt(10)
	v_mul_f64 v[208:209], v[142:143], v[138:139]
	v_fma_f64 v[208:209], v[140:141], v[136:137], -v[208:209]
	v_mul_f64 v[140:141], v[140:141], v[138:139]
	v_fma_f64 v[210:211], v[142:143], v[136:137], v[140:141]
	s_waitcnt lgkmcnt(9)
	v_mul_f64 v[140:141], v[146:147], v[130:131]
	v_fma_f64 v[212:213], v[144:145], v[128:129], -v[140:141]
	v_mul_f64 v[140:141], v[144:145], v[130:131]
	v_fma_f64 v[214:215], v[146:147], v[128:129], v[140:141]
	s_waitcnt lgkmcnt(8)
	;; [unrolled: 5-line block ×3, first 2 shown]
	v_mul_f64 v[140:141], v[154:155], v[126:127]
	v_fma_f64 v[220:221], v[152:153], v[124:125], -v[140:141]
	v_mul_f64 v[140:141], v[152:153], v[126:127]
	v_fma_f64 v[222:223], v[154:155], v[124:125], v[140:141]
	s_clause 0x3
	global_load_dwordx4 v[144:147], v[190:191], off offset:1200
	global_load_dwordx4 v[140:143], v[190:191], off offset:1184
	global_load_dwordx4 v[148:151], v[190:191], off offset:1168
	global_load_dwordx4 v[152:155], v[190:191], off offset:1152
	s_waitcnt vmcnt(0) lgkmcnt(6)
	v_mul_f64 v[224:225], v[166:167], v[154:155]
	v_fma_f64 v[224:225], v[164:165], v[152:153], -v[224:225]
	v_mul_f64 v[164:165], v[164:165], v[154:155]
	v_add_f64 v[224:225], v[192:193], -v[224:225]
	v_fma_f64 v[226:227], v[166:167], v[152:153], v[164:165]
	s_waitcnt lgkmcnt(5)
	v_mul_f64 v[164:165], v[186:187], v[150:151]
	v_fma_f64 v[192:193], v[192:193], 2.0, -v[224:225]
	v_add_f64 v[226:227], v[194:195], -v[226:227]
	v_fma_f64 v[228:229], v[184:185], v[148:149], -v[164:165]
	v_mul_f64 v[164:165], v[184:185], v[150:151]
	v_fma_f64 v[194:195], v[194:195], 2.0, -v[226:227]
	v_add_f64 v[228:229], v[196:197], -v[228:229]
	v_fma_f64 v[184:185], v[186:187], v[148:149], v[164:165]
	s_waitcnt lgkmcnt(4)
	v_mul_f64 v[164:165], v[162:163], v[142:143]
	v_fma_f64 v[196:197], v[196:197], 2.0, -v[228:229]
	v_add_f64 v[184:185], v[198:199], -v[184:185]
	v_fma_f64 v[186:187], v[160:161], v[140:141], -v[164:165]
	v_mul_f64 v[160:161], v[160:161], v[142:143]
	v_fma_f64 v[198:199], v[198:199], 2.0, -v[184:185]
	v_add_f64 v[186:187], v[200:201], -v[186:187]
	v_fma_f64 v[230:231], v[162:163], v[140:141], v[160:161]
	s_waitcnt lgkmcnt(3)
	v_mul_f64 v[160:161], v[158:159], v[146:147]
	v_fma_f64 v[200:201], v[200:201], 2.0, -v[186:187]
	v_add_f64 v[230:231], v[202:203], -v[230:231]
	v_fma_f64 v[243:244], v[156:157], v[144:145], -v[160:161]
	v_mul_f64 v[156:157], v[156:157], v[146:147]
	v_fma_f64 v[202:203], v[202:203], 2.0, -v[230:231]
	v_fma_f64 v[245:246], v[158:159], v[144:145], v[156:157]
	s_clause 0x2
	global_load_dwordx4 v[156:159], v[190:191], off offset:1248
	global_load_dwordx4 v[160:163], v[190:191], off offset:1232
	;; [unrolled: 1-line block ×3, first 2 shown]
	s_waitcnt vmcnt(0) lgkmcnt(2)
	v_mul_f64 v[190:191], v[182:183], v[166:167]
	v_fma_f64 v[190:191], v[180:181], v[164:165], -v[190:191]
	v_mul_f64 v[180:181], v[180:181], v[166:167]
	v_add_f64 v[190:191], v[208:209], -v[190:191]
	v_fma_f64 v[180:181], v[182:183], v[164:165], v[180:181]
	s_waitcnt lgkmcnt(1)
	v_mul_f64 v[182:183], v[178:179], v[162:163]
	v_fma_f64 v[208:209], v[208:209], 2.0, -v[190:191]
	v_add_f64 v[180:181], v[210:211], -v[180:181]
	v_fma_f64 v[182:183], v[176:177], v[160:161], -v[182:183]
	v_mul_f64 v[176:177], v[176:177], v[162:163]
	v_add_f64 v[190:191], v[226:227], v[190:191]
	v_add_f64 v[208:209], v[192:193], -v[208:209]
	v_fma_f64 v[210:211], v[210:211], 2.0, -v[180:181]
	v_add_f64 v[182:183], v[212:213], -v[182:183]
	v_fma_f64 v[176:177], v[178:179], v[160:161], v[176:177]
	s_waitcnt lgkmcnt(0)
	v_mul_f64 v[178:179], v[174:175], v[158:159]
	v_add_f64 v[180:181], v[224:225], -v[180:181]
	v_fma_f64 v[226:227], v[226:227], 2.0, -v[190:191]
	v_fma_f64 v[192:193], v[192:193], 2.0, -v[208:209]
	v_add_f64 v[210:211], v[194:195], -v[210:211]
	v_fma_f64 v[212:213], v[212:213], 2.0, -v[182:183]
	v_add_f64 v[176:177], v[214:215], -v[176:177]
	v_fma_f64 v[178:179], v[172:173], v[156:157], -v[178:179]
	v_mul_f64 v[172:173], v[172:173], v[158:159]
	v_add_f64 v[182:183], v[184:185], v[182:183]
	v_fma_f64 v[224:225], v[224:225], 2.0, -v[180:181]
	v_fma_f64 v[194:195], v[194:195], 2.0, -v[210:211]
	v_add_f64 v[212:213], v[196:197], -v[212:213]
	v_fma_f64 v[214:215], v[214:215], 2.0, -v[176:177]
	v_add_f64 v[176:177], v[228:229], -v[176:177]
	v_fma_f64 v[172:173], v[174:175], v[156:157], v[172:173]
	v_add_f64 v[174:175], v[168:169], -v[220:221]
	v_add_f64 v[220:221], v[170:171], -v[222:223]
	;; [unrolled: 1-line block ×5, first 2 shown]
	v_fma_f64 v[184:185], v[184:185], 2.0, -v[182:183]
	v_fma_f64 v[196:197], v[196:197], 2.0, -v[212:213]
	v_add_f64 v[214:215], v[198:199], -v[214:215]
	v_fma_f64 v[228:229], v[228:229], 2.0, -v[176:177]
	v_add_f64 v[172:173], v[218:219], -v[172:173]
	v_fma_f64 v[168:169], v[168:169], 2.0, -v[174:175]
	v_fma_f64 v[170:171], v[170:171], 2.0, -v[220:221]
	;; [unrolled: 1-line block ×4, first 2 shown]
	v_add_f64 v[243:244], v[174:175], -v[243:244]
	v_add_f64 v[222:223], v[220:221], v[222:223]
	v_fma_f64 v[216:217], v[216:217], 2.0, -v[178:179]
	v_add_f64 v[178:179], v[230:231], v[178:179]
	v_fma_f64 v[198:199], v[198:199], 2.0, -v[214:215]
	v_fma_f64 v[218:219], v[218:219], 2.0, -v[172:173]
	v_add_f64 v[172:173], v[186:187], -v[172:173]
	v_add_f64 v[204:205], v[168:169], -v[204:205]
	;; [unrolled: 1-line block ×3, first 2 shown]
	v_fma_f64 v[174:175], v[174:175], 2.0, -v[243:244]
	v_fma_f64 v[220:221], v[220:221], 2.0, -v[222:223]
	v_add_f64 v[216:217], v[200:201], -v[216:217]
	v_fma_f64 v[230:231], v[230:231], 2.0, -v[178:179]
	v_add_f64 v[218:219], v[202:203], -v[218:219]
	v_fma_f64 v[186:187], v[186:187], 2.0, -v[172:173]
	v_fma_f64 v[168:169], v[168:169], 2.0, -v[204:205]
	;; [unrolled: 1-line block ×3, first 2 shown]
	v_add_f64 v[251:252], v[204:205], -v[214:215]
	v_add_f64 v[253:254], v[206:207], v[212:213]
	v_fma_f64 v[200:201], v[200:201], 2.0, -v[216:217]
	v_fma_f64 v[202:203], v[202:203], 2.0, -v[218:219]
	v_add_f64 v[245:246], v[168:169], -v[196:197]
	v_add_f64 v[247:248], v[170:171], -v[198:199]
	v_fma_f64 v[204:205], v[204:205], 2.0, -v[251:252]
	v_fma_f64 v[206:207], v[206:207], 2.0, -v[253:254]
	v_add_f64 v[202:203], v[194:195], -v[202:203]
	v_fma_f64 v[196:197], v[168:169], 2.0, -v[245:246]
	v_fma_f64 v[198:199], v[170:171], 2.0, -v[247:248]
	v_fma_f64 v[168:169], v[228:229], s[2:3], v[174:175]
	v_fma_f64 v[170:171], v[184:185], s[2:3], v[220:221]
	;; [unrolled: 1-line block ×6, first 2 shown]
	v_fma_f64 v[184:185], v[174:175], 2.0, -v[249:250]
	v_fma_f64 v[174:175], v[186:187], s[2:3], v[224:225]
	v_fma_f64 v[238:239], v[176:177], s[6:7], v[170:171]
	;; [unrolled: 1-line block ×4, first 2 shown]
	v_fma_f64 v[170:171], v[194:195], 2.0, -v[202:203]
	v_fma_f64 v[194:195], v[178:179], s[6:7], v[190:191]
	v_fma_f64 v[220:221], v[220:221], 2.0, -v[228:229]
	v_add_f64 v[202:203], v[245:246], -v[202:203]
	v_fma_f64 v[230:231], v[230:231], s[2:3], v[174:175]
	v_fma_f64 v[214:215], v[222:223], 2.0, -v[238:239]
	v_add_f64 v[222:223], v[192:193], -v[200:201]
	v_fma_f64 v[174:175], v[172:173], s[6:7], v[180:181]
	v_fma_f64 v[212:213], v[243:244], 2.0, -v[233:234]
	v_fma_f64 v[243:244], v[186:187], s[6:7], v[176:177]
	v_fma_f64 v[94:95], v[172:173], s[6:7], v[194:195]
	v_add_f64 v[170:171], v[198:199], -v[170:171]
	v_fma_f64 v[182:183], v[224:225], 2.0, -v[230:231]
	v_add_f64 v[224:225], v[208:209], -v[218:219]
	v_fma_f64 v[168:169], v[192:193], 2.0, -v[222:223]
	v_fma_f64 v[92:93], v[178:179], s[2:3], v[174:175]
	v_add_f64 v[218:219], v[210:211], v[216:217]
	v_fma_f64 v[176:177], v[226:227], 2.0, -v[243:244]
	v_fma_f64 v[194:195], v[190:191], 2.0, -v[94:95]
	;; [unrolled: 1-line block ×3, first 2 shown]
	v_fma_f64 v[178:179], v[182:183], s[18:19], v[184:185]
	v_fma_f64 v[186:187], v[208:209], 2.0, -v[224:225]
	v_add_f64 v[168:169], v[196:197], -v[168:169]
	v_fma_f64 v[200:201], v[180:181], 2.0, -v[92:93]
	v_fma_f64 v[192:193], v[210:211], 2.0, -v[218:219]
	v_fma_f64 v[180:181], v[176:177], s[18:19], v[220:221]
	v_fma_f64 v[198:199], v[194:195], s[12:13], v[214:215]
	;; [unrolled: 1-line block ×5, first 2 shown]
	v_fma_f64 v[172:173], v[196:197], 2.0, -v[168:169]
	v_fma_f64 v[196:197], v[200:201], s[12:13], v[212:213]
	v_fma_f64 v[190:191], v[192:193], s[2:3], v[206:207]
	;; [unrolled: 1-line block ×5, first 2 shown]
	v_fma_f64 v[180:181], v[184:185], 2.0, -v[176:177]
	v_fma_f64 v[184:185], v[186:187], s[2:3], v[204:205]
	v_fma_f64 v[194:195], v[194:195], s[18:19], v[196:197]
	;; [unrolled: 1-line block ×3, first 2 shown]
	v_fma_f64 v[182:183], v[220:221], 2.0, -v[178:179]
	v_fma_f64 v[186:187], v[186:187], s[6:7], v[190:191]
	v_fma_f64 v[220:221], v[224:225], s[6:7], v[251:252]
	;; [unrolled: 1-line block ×3, first 2 shown]
	v_fma_f64 v[198:199], v[212:213], 2.0, -v[194:195]
	v_fma_f64 v[212:213], v[243:244], s[14:15], v[228:229]
	v_fma_f64 v[200:201], v[214:215], 2.0, -v[196:197]
	v_fma_f64 v[192:193], v[206:207], 2.0, -v[186:187]
	;; [unrolled: 1-line block ×6, first 2 shown]
	v_add_f64 v[204:205], v[247:248], v[222:223]
	v_fma_f64 v[222:223], v[218:219], s[6:7], v[253:254]
	v_fma_f64 v[212:213], v[230:231], s[16:17], v[212:213]
	;; [unrolled: 1-line block ×3, first 2 shown]
	v_fma_f64 v[208:209], v[247:248], 2.0, -v[204:205]
	v_fma_f64 v[220:221], v[224:225], s[6:7], v[222:223]
	v_fma_f64 v[216:217], v[228:229], 2.0, -v[212:213]
	v_fma_f64 v[228:229], v[94:95], s[16:17], v[238:239]
	v_fma_f64 v[222:223], v[251:252], 2.0, -v[218:219]
	v_lshlrev_b32_e32 v94, 4, v255
	v_fma_f64 v[224:225], v[253:254], 2.0, -v[220:221]
	v_fma_f64 v[228:229], v[92:93], s[14:15], v[228:229]
	v_fma_f64 v[245:246], v[238:239], 2.0, -v[228:229]
	ds_write_b128 v237, v[172:175]
	ds_write_b128 v237, v[180:183] offset:1280
	ds_write_b128 v237, v[190:193] offset:2560
	;; [unrolled: 1-line block ×15, first 2 shown]
	s_waitcnt lgkmcnt(0)
	s_barrier
	buffer_gl0_inv
	global_load_dwordx4 v[174:177], v94, s[20:21]
	ds_read_b128 v[170:173], v237
	v_add_co_u32 v168, s0, s20, v94
	v_add_co_ci_u32_e64 v169, null, s21, 0, s0
	s_waitcnt vmcnt(0) lgkmcnt(0)
	v_mul_f64 v[92:93], v[172:173], v[176:177]
	v_fma_f64 v[178:179], v[170:171], v[174:175], -v[92:93]
	v_mul_f64 v[92:93], v[170:171], v[176:177]
	v_fma_f64 v[180:181], v[172:173], v[174:175], v[92:93]
	global_load_dwordx4 v[174:177], v94, s[20:21] offset:1280
	ds_read_b128 v[170:173], v237 offset:1280
	ds_write_b128 v237, v[178:181]
	s_waitcnt vmcnt(0) lgkmcnt(1)
	v_mul_f64 v[92:93], v[172:173], v[176:177]
	v_fma_f64 v[178:179], v[170:171], v[174:175], -v[92:93]
	v_mul_f64 v[92:93], v[170:171], v[176:177]
	v_fma_f64 v[180:181], v[172:173], v[174:175], v[92:93]
	v_add_co_u32 v92, s0, 0x800, v168
	v_add_co_ci_u32_e64 v93, s0, 0, v169, s0
	ds_read_b128 v[170:173], v237 offset:2560
	global_load_dwordx4 v[174:177], v[92:93], off offset:512
	ds_write_b128 v237, v[178:181] offset:1280
	s_waitcnt vmcnt(0) lgkmcnt(1)
	v_mul_f64 v[94:95], v[172:173], v[176:177]
	v_fma_f64 v[178:179], v[170:171], v[174:175], -v[94:95]
	v_mul_f64 v[94:95], v[170:171], v[176:177]
	v_fma_f64 v[180:181], v[172:173], v[174:175], v[94:95]
	global_load_dwordx4 v[174:177], v[92:93], off offset:1792
	ds_read_b128 v[170:173], v237 offset:3840
	ds_write_b128 v237, v[178:181] offset:2560
	s_waitcnt vmcnt(0) lgkmcnt(1)
	v_mul_f64 v[92:93], v[172:173], v[176:177]
	v_fma_f64 v[178:179], v[170:171], v[174:175], -v[92:93]
	v_mul_f64 v[92:93], v[170:171], v[176:177]
	v_fma_f64 v[180:181], v[172:173], v[174:175], v[92:93]
	v_add_co_u32 v92, s0, 0x1000, v168
	v_add_co_ci_u32_e64 v93, s0, 0, v169, s0
	ds_read_b128 v[170:173], v237 offset:5120
	global_load_dwordx4 v[174:177], v[92:93], off offset:1024
	ds_write_b128 v237, v[178:181] offset:3840
	s_waitcnt vmcnt(0) lgkmcnt(1)
	v_mul_f64 v[92:93], v[172:173], v[176:177]
	v_fma_f64 v[178:179], v[170:171], v[174:175], -v[92:93]
	v_mul_f64 v[92:93], v[170:171], v[176:177]
	v_fma_f64 v[180:181], v[172:173], v[174:175], v[92:93]
	v_add_co_u32 v92, s0, 0x1800, v168
	v_add_co_ci_u32_e64 v93, s0, 0, v169, s0
	ds_read_b128 v[170:173], v237 offset:6400
	global_load_dwordx4 v[174:177], v[92:93], off offset:256
	ds_write_b128 v237, v[178:181] offset:5120
	s_waitcnt vmcnt(0) lgkmcnt(1)
	v_mul_f64 v[94:95], v[172:173], v[176:177]
	v_fma_f64 v[178:179], v[170:171], v[174:175], -v[94:95]
	v_mul_f64 v[94:95], v[170:171], v[176:177]
	v_fma_f64 v[180:181], v[172:173], v[174:175], v[94:95]
	global_load_dwordx4 v[174:177], v[92:93], off offset:1536
	ds_read_b128 v[170:173], v237 offset:7680
	ds_write_b128 v237, v[178:181] offset:6400
	s_waitcnt vmcnt(0) lgkmcnt(1)
	v_mul_f64 v[92:93], v[172:173], v[176:177]
	v_fma_f64 v[178:179], v[170:171], v[174:175], -v[92:93]
	v_mul_f64 v[92:93], v[170:171], v[176:177]
	v_fma_f64 v[180:181], v[172:173], v[174:175], v[92:93]
	v_add_co_u32 v92, s0, 0x2000, v168
	v_add_co_ci_u32_e64 v93, s0, 0, v169, s0
	ds_read_b128 v[170:173], v237 offset:8960
	global_load_dwordx4 v[174:177], v[92:93], off offset:768
	ds_write_b128 v237, v[178:181] offset:7680
	s_waitcnt vmcnt(0) lgkmcnt(1)
	v_mul_f64 v[92:93], v[172:173], v[176:177]
	v_fma_f64 v[178:179], v[170:171], v[174:175], -v[92:93]
	v_mul_f64 v[92:93], v[170:171], v[176:177]
	v_fma_f64 v[180:181], v[172:173], v[174:175], v[92:93]
	global_load_dwordx4 v[174:177], v189, s[20:21]
	ds_read_b128 v[170:173], v237 offset:10240
	ds_write_b128 v237, v[178:181] offset:8960
	s_waitcnt vmcnt(0) lgkmcnt(1)
	v_mul_f64 v[92:93], v[172:173], v[176:177]
	v_fma_f64 v[178:179], v[170:171], v[174:175], -v[92:93]
	v_mul_f64 v[92:93], v[170:171], v[176:177]
	v_fma_f64 v[180:181], v[172:173], v[174:175], v[92:93]
	v_add_co_u32 v92, s0, 0x2800, v168
	v_add_co_ci_u32_e64 v93, s0, 0, v169, s0
	ds_read_b128 v[170:173], v237 offset:11520
	global_load_dwordx4 v[174:177], v[92:93], off offset:1280
	ds_write_b128 v237, v[178:181] offset:10240
	s_waitcnt vmcnt(0) lgkmcnt(1)
	v_mul_f64 v[92:93], v[172:173], v[176:177]
	v_fma_f64 v[178:179], v[170:171], v[174:175], -v[92:93]
	v_mul_f64 v[92:93], v[170:171], v[176:177]
	v_fma_f64 v[180:181], v[172:173], v[174:175], v[92:93]
	v_add_co_u32 v92, s0, 0x3000, v168
	v_add_co_ci_u32_e64 v93, s0, 0, v169, s0
	ds_read_b128 v[170:173], v237 offset:12800
	global_load_dwordx4 v[174:177], v[92:93], off offset:512
	ds_write_b128 v237, v[178:181] offset:11520
	s_waitcnt vmcnt(0) lgkmcnt(1)
	v_mul_f64 v[94:95], v[172:173], v[176:177]
	v_fma_f64 v[178:179], v[170:171], v[174:175], -v[94:95]
	v_mul_f64 v[94:95], v[170:171], v[176:177]
	v_fma_f64 v[180:181], v[172:173], v[174:175], v[94:95]
	global_load_dwordx4 v[174:177], v[92:93], off offset:1792
	ds_read_b128 v[170:173], v237 offset:14080
	ds_write_b128 v237, v[178:181] offset:12800
	s_waitcnt vmcnt(0) lgkmcnt(1)
	v_mul_f64 v[92:93], v[172:173], v[176:177]
	v_fma_f64 v[178:179], v[170:171], v[174:175], -v[92:93]
	v_mul_f64 v[92:93], v[170:171], v[176:177]
	v_fma_f64 v[180:181], v[172:173], v[174:175], v[92:93]
	v_add_co_u32 v92, s0, 0x3800, v168
	v_add_co_ci_u32_e64 v93, s0, 0, v169, s0
	ds_read_b128 v[170:173], v237 offset:15360
	global_load_dwordx4 v[174:177], v[92:93], off offset:1024
	ds_write_b128 v237, v[178:181] offset:14080
	s_waitcnt vmcnt(0) lgkmcnt(1)
	v_mul_f64 v[92:93], v[172:173], v[176:177]
	v_fma_f64 v[178:179], v[170:171], v[174:175], -v[92:93]
	v_mul_f64 v[92:93], v[170:171], v[176:177]
	v_fma_f64 v[180:181], v[172:173], v[174:175], v[92:93]
	v_add_co_u32 v92, s0, 0x4000, v168
	v_add_co_ci_u32_e64 v93, s0, 0, v169, s0
	ds_read_b128 v[170:173], v237 offset:16640
	global_load_dwordx4 v[174:177], v[92:93], off offset:256
	ds_write_b128 v237, v[178:181] offset:15360
	s_waitcnt vmcnt(0) lgkmcnt(1)
	v_mul_f64 v[94:95], v[172:173], v[176:177]
	v_fma_f64 v[178:179], v[170:171], v[174:175], -v[94:95]
	v_mul_f64 v[94:95], v[170:171], v[176:177]
	v_fma_f64 v[180:181], v[172:173], v[174:175], v[94:95]
	global_load_dwordx4 v[174:177], v[92:93], off offset:1536
	ds_read_b128 v[170:173], v237 offset:17920
	ds_write_b128 v237, v[178:181] offset:16640
	s_waitcnt vmcnt(0) lgkmcnt(1)
	v_mul_f64 v[92:93], v[172:173], v[176:177]
	v_fma_f64 v[178:179], v[170:171], v[174:175], -v[92:93]
	v_mul_f64 v[92:93], v[170:171], v[176:177]
	v_fma_f64 v[180:181], v[172:173], v[174:175], v[92:93]
	v_add_co_u32 v92, s0, 0x4800, v168
	v_add_co_ci_u32_e64 v93, s0, 0, v169, s0
	ds_read_b128 v[170:173], v237 offset:19200
	global_load_dwordx4 v[174:177], v[92:93], off offset:768
	ds_write_b128 v237, v[178:181] offset:17920
	s_waitcnt vmcnt(0) lgkmcnt(1)
	v_mul_f64 v[92:93], v[172:173], v[176:177]
	v_fma_f64 v[168:169], v[170:171], v[174:175], -v[92:93]
	v_mul_f64 v[92:93], v[170:171], v[176:177]
	v_fma_f64 v[170:171], v[172:173], v[174:175], v[92:93]
	ds_write_b128 v237, v[168:171] offset:19200
	s_waitcnt lgkmcnt(0)
	s_barrier
	buffer_gl0_inv
	ds_read_b128 v[168:171], v237
	ds_read_b128 v[172:175], v237 offset:1280
	ds_read_b128 v[176:179], v237 offset:2560
	;; [unrolled: 1-line block ×15, first 2 shown]
	s_waitcnt lgkmcnt(0)
	s_barrier
	buffer_gl0_inv
	v_add_f64 v[92:93], v[168:169], -v[201:202]
	v_add_f64 v[94:95], v[170:171], -v[203:204]
	;; [unrolled: 1-line block ×16, first 2 shown]
	v_fma_f64 v[168:169], v[168:169], 2.0, -v[92:93]
	v_fma_f64 v[170:171], v[170:171], 2.0, -v[94:95]
	;; [unrolled: 1-line block ×8, first 2 shown]
	v_add_f64 v[203:204], v[92:93], v[203:204]
	v_add_f64 v[201:202], v[94:95], -v[201:202]
	v_add_f64 v[219:220], v[209:210], v[219:220]
	v_add_f64 v[217:218], v[211:212], -v[217:218]
	v_fma_f64 v[172:173], v[172:173], 2.0, -v[205:206]
	v_fma_f64 v[174:175], v[174:175], 2.0, -v[207:208]
	;; [unrolled: 1-line block ×8, first 2 shown]
	v_add_f64 v[223:224], v[205:206], v[223:224]
	v_add_f64 v[221:222], v[207:208], -v[221:222]
	v_add_f64 v[227:228], v[213:214], v[227:228]
	v_add_f64 v[225:226], v[215:216], -v[225:226]
	v_add_f64 v[184:185], v[168:169], -v[184:185]
	;; [unrolled: 1-line block ×5, first 2 shown]
	v_fma_f64 v[92:93], v[92:93], 2.0, -v[203:204]
	v_fma_f64 v[94:95], v[94:95], 2.0, -v[201:202]
	;; [unrolled: 1-line block ×4, first 2 shown]
	v_add_f64 v[189:190], v[172:173], -v[189:190]
	v_add_f64 v[191:192], v[174:175], -v[191:192]
	v_add_f64 v[197:198], v[180:181], -v[197:198]
	v_add_f64 v[199:200], v[182:183], -v[199:200]
	v_fma_f64 v[205:206], v[205:206], 2.0, -v[223:224]
	v_fma_f64 v[207:208], v[207:208], 2.0, -v[221:222]
	;; [unrolled: 1-line block ×8, first 2 shown]
	v_add_f64 v[245:246], v[184:185], v[195:196]
	v_add_f64 v[247:248], v[186:187], -v[193:194]
	v_fma_f64 v[172:173], v[172:173], 2.0, -v[189:190]
	v_fma_f64 v[174:175], v[174:175], 2.0, -v[191:192]
	;; [unrolled: 1-line block ×4, first 2 shown]
	v_add_f64 v[253:254], v[189:190], v[199:200]
	v_add_f64 v[231:232], v[191:192], -v[197:198]
	v_add_f64 v[229:230], v[168:169], -v[176:177]
	v_add_f64 v[233:234], v[170:171], -v[178:179]
	v_fma_f64 v[176:177], v[209:210], s[2:3], v[92:93]
	v_fma_f64 v[178:179], v[211:212], s[2:3], v[94:95]
	v_fma_f64 v[193:194], v[184:185], 2.0, -v[245:246]
	v_fma_f64 v[195:196], v[186:187], 2.0, -v[247:248]
	;; [unrolled: 1-line block ×6, first 2 shown]
	v_fma_f64 v[238:239], v[211:212], s[6:7], v[176:177]
	v_fma_f64 v[243:244], v[209:210], s[2:3], v[178:179]
	v_fma_f64 v[176:177], v[219:220], s[6:7], v[203:204]
	v_fma_f64 v[178:179], v[217:218], s[6:7], v[201:202]
	v_add_f64 v[211:212], v[172:173], -v[180:181]
	v_fma_f64 v[92:93], v[92:93], 2.0, -v[238:239]
	v_fma_f64 v[94:95], v[94:95], 2.0, -v[243:244]
	v_fma_f64 v[249:250], v[217:218], s[6:7], v[176:177]
	v_fma_f64 v[251:252], v[219:220], s[2:3], v[178:179]
	v_add_f64 v[217:218], v[174:175], -v[182:183]
	v_fma_f64 v[176:177], v[213:214], s[2:3], v[205:206]
	v_fma_f64 v[178:179], v[215:216], s[2:3], v[207:208]
	v_fma_f64 v[172:173], v[172:173], 2.0, -v[211:212]
	v_fma_f64 v[203:204], v[203:204], 2.0, -v[249:250]
	;; [unrolled: 1-line block ×4, first 2 shown]
	v_fma_f64 v[215:216], v[215:216], s[6:7], v[176:177]
	v_fma_f64 v[213:214], v[213:214], s[2:3], v[178:179]
	;; [unrolled: 1-line block ×4, first 2 shown]
	v_add_f64 v[172:173], v[168:169], -v[172:173]
	v_add_f64 v[174:175], v[170:171], -v[174:175]
	v_fma_f64 v[182:183], v[205:206], 2.0, -v[215:216]
	v_fma_f64 v[180:181], v[207:208], 2.0, -v[213:214]
	v_fma_f64 v[96:97], v[225:226], s[6:7], v[176:177]
	v_fma_f64 v[98:99], v[227:228], s[2:3], v[178:179]
	v_fma_f64 v[176:177], v[168:169], 2.0, -v[172:173]
	v_add_f64 v[205:206], v[229:230], v[217:218]
	v_add_f64 v[207:208], v[233:234], -v[211:212]
	v_fma_f64 v[178:179], v[170:171], 2.0, -v[174:175]
	v_fma_f64 v[168:169], v[182:183], s[18:19], v[92:93]
	v_fma_f64 v[170:171], v[180:181], s[18:19], v[94:95]
	v_fma_f64 v[199:200], v[223:224], 2.0, -v[96:97]
	v_fma_f64 v[201:202], v[221:222], 2.0, -v[98:99]
	;; [unrolled: 1-line block ×3, first 2 shown]
	v_fma_f64 v[180:181], v[180:181], s[14:15], v[168:169]
	v_fma_f64 v[182:183], v[182:183], s[12:13], v[170:171]
	v_fma_f64 v[184:185], v[92:93], 2.0, -v[180:181]
	v_fma_f64 v[186:187], v[94:95], 2.0, -v[182:183]
	v_fma_f64 v[92:93], v[197:198], s[2:3], v[193:194]
	v_fma_f64 v[94:95], v[189:190], s[2:3], v[195:196]
	;; [unrolled: 1-line block ×6, first 2 shown]
	v_fma_f64 v[193:194], v[193:194], 2.0, -v[189:190]
	v_fma_f64 v[195:196], v[195:196], 2.0, -v[191:192]
	v_fma_f64 v[197:198], v[201:202], s[16:17], v[92:93]
	v_fma_f64 v[199:200], v[199:200], s[18:19], v[94:95]
	;; [unrolled: 1-line block ×4, first 2 shown]
	v_fma_f64 v[201:202], v[203:204], 2.0, -v[197:198]
	v_fma_f64 v[203:204], v[209:210], 2.0, -v[199:200]
	v_fma_f64 v[213:214], v[213:214], s[16:17], v[92:93]
	v_fma_f64 v[215:216], v[215:216], s[18:19], v[94:95]
	;; [unrolled: 1-line block ×4, first 2 shown]
	v_fma_f64 v[209:210], v[229:230], 2.0, -v[205:206]
	v_fma_f64 v[217:218], v[238:239], 2.0, -v[213:214]
	;; [unrolled: 1-line block ×3, first 2 shown]
	v_fma_f64 v[221:222], v[231:232], s[6:7], v[92:93]
	v_fma_f64 v[223:224], v[253:254], s[2:3], v[94:95]
	v_fma_f64 v[92:93], v[96:97], s[16:17], v[249:250]
	v_fma_f64 v[94:95], v[98:99], s[16:17], v[251:252]
	v_fma_f64 v[225:226], v[245:246], 2.0, -v[221:222]
	v_fma_f64 v[227:228], v[247:248], 2.0, -v[223:224]
	v_fma_f64 v[168:169], v[98:99], s[14:15], v[92:93]
	v_fma_f64 v[170:171], v[96:97], s[12:13], v[94:95]
	v_fma_f64 v[243:244], v[249:250], 2.0, -v[168:169]
	v_fma_f64 v[245:246], v[251:252], 2.0, -v[170:171]
	ds_write_b128 v188, v[176:179]
	ds_write_b128 v188, v[184:187] offset:16
	ds_write_b128 v188, v[193:196] offset:32
	;; [unrolled: 1-line block ×15, first 2 shown]
	s_waitcnt lgkmcnt(0)
	s_barrier
	buffer_gl0_inv
	ds_read_b128 v[188:191], v237
	ds_read_b128 v[228:231], v237 offset:4096
	ds_read_b128 v[224:227], v237 offset:8192
	;; [unrolled: 1-line block ×14, first 2 shown]
	s_and_saveexec_b32 s0, vcc_lo
	s_cbranch_execz .LBB0_7
; %bb.6:
	ds_read_b128 v[168:171], v237 offset:3840
	ds_read_b128 v[92:95], v237 offset:7936
	s_waitcnt lgkmcnt(0)
	buffer_store_dword v92, off, s[24:27], 0 ; 4-byte Folded Spill
	buffer_store_dword v93, off, s[24:27], 0 offset:4 ; 4-byte Folded Spill
	buffer_store_dword v94, off, s[24:27], 0 offset:8 ; 4-byte Folded Spill
	;; [unrolled: 1-line block ×3, first 2 shown]
	ds_read_b128 v[100:103], v237 offset:12032
	ds_read_b128 v[104:107], v237 offset:16128
	;; [unrolled: 1-line block ×3, first 2 shown]
	s_waitcnt lgkmcnt(0)
	buffer_store_dword v92, off, s[24:27], 0 offset:16 ; 4-byte Folded Spill
	buffer_store_dword v93, off, s[24:27], 0 offset:20 ; 4-byte Folded Spill
	;; [unrolled: 1-line block ×4, first 2 shown]
.LBB0_7:
	s_or_b32 exec_lo, exec_lo, s0
	s_waitcnt lgkmcnt(13)
	v_mul_f64 v[94:95], v[66:67], v[228:229]
	s_waitcnt lgkmcnt(12)
	v_mul_f64 v[96:97], v[70:71], v[224:225]
	v_mul_f64 v[92:93], v[66:67], v[230:231]
	s_waitcnt lgkmcnt(11)
	v_mul_f64 v[98:99], v[78:79], v[220:221]
	s_mov_b32 s12, 0x134454ff
	s_mov_b32 s13, 0xbfee6f0e
	;; [unrolled: 1-line block ×10, first 2 shown]
	s_waitcnt lgkmcnt(0)
	s_waitcnt_vscnt null, 0x0
	s_barrier
	buffer_gl0_inv
	v_fma_f64 v[230:231], v[235:236], v[230:231], -v[94:95]
	v_mul_f64 v[94:95], v[70:71], v[226:227]
	v_fma_f64 v[226:227], v[74:75], v[226:227], -v[96:97]
	v_mul_f64 v[96:97], v[78:79], v[222:223]
	v_fma_f64 v[92:93], v[235:236], v[228:229], v[92:93]
	v_fma_f64 v[94:95], v[74:75], v[224:225], v[94:95]
	;; [unrolled: 1-line block ×3, first 2 shown]
	v_fma_f64 v[220:221], v[82:83], v[222:223], -v[98:99]
	v_mul_f64 v[98:99], v[86:87], v[218:219]
	v_fma_f64 v[98:99], v[90:91], v[216:217], v[98:99]
	v_mul_f64 v[216:217], v[86:87], v[216:217]
	v_fma_f64 v[216:217], v[90:91], v[218:219], -v[216:217]
	v_mul_f64 v[218:219], v[66:67], v[210:211]
	v_fma_f64 v[218:219], v[235:236], v[208:209], v[218:219]
	v_mul_f64 v[208:209], v[66:67], v[208:209]
	;; [unrolled: 4-line block ×5, first 2 shown]
	v_fma_f64 v[243:244], v[90:91], v[206:207], -v[204:205]
	v_mul_f64 v[204:205], v[66:67], v[194:195]
	v_mul_f64 v[66:67], v[66:67], v[192:193]
	v_fma_f64 v[245:246], v[235:236], v[192:193], v[204:205]
	v_mul_f64 v[192:193], v[70:71], v[182:183]
	v_mul_f64 v[70:71], v[70:71], v[180:181]
	v_fma_f64 v[66:67], v[235:236], v[194:195], -v[66:67]
	v_fma_f64 v[194:195], v[74:75], v[180:181], v[192:193]
	v_fma_f64 v[70:71], v[74:75], v[182:183], -v[70:71]
	v_mul_f64 v[74:75], v[78:79], v[178:179]
	v_mul_f64 v[78:79], v[78:79], v[176:177]
	v_add_f64 v[180:181], v[92:93], -v[94:95]
	v_add_f64 v[182:183], v[98:99], -v[96:97]
	;; [unrolled: 1-line block ×3, first 2 shown]
	v_fma_f64 v[74:75], v[82:83], v[176:177], v[74:75]
	v_fma_f64 v[78:79], v[82:83], v[178:179], -v[78:79]
	v_mul_f64 v[82:83], v[86:87], v[174:175]
	v_mul_f64 v[86:87], v[86:87], v[172:173]
	v_add_f64 v[178:179], v[226:227], -v[220:221]
	v_add_f64 v[182:183], v[180:181], v[182:183]
	v_fma_f64 v[82:83], v[90:91], v[172:173], v[82:83]
	v_fma_f64 v[86:87], v[90:91], v[174:175], -v[86:87]
	v_add_f64 v[90:91], v[188:189], v[92:93]
	v_add_f64 v[174:175], v[230:231], -v[216:217]
	v_add_f64 v[90:91], v[90:91], v[94:95]
	v_add_f64 v[90:91], v[90:91], v[96:97]
	;; [unrolled: 1-line block ×4, first 2 shown]
	v_fma_f64 v[90:91], v[90:91], -0.5, v[188:189]
	v_fma_f64 v[172:173], v[174:175], s[12:13], v[90:91]
	v_fma_f64 v[90:91], v[174:175], s[14:15], v[90:91]
	;; [unrolled: 1-line block ×6, first 2 shown]
	v_add_f64 v[90:91], v[92:93], v[98:99]
	v_fma_f64 v[90:91], v[90:91], -0.5, v[188:189]
	v_add_f64 v[188:189], v[94:95], -v[92:93]
	v_add_f64 v[92:93], v[92:93], -v[98:99]
	;; [unrolled: 1-line block ×3, first 2 shown]
	v_fma_f64 v[182:183], v[178:179], s[14:15], v[90:91]
	v_fma_f64 v[90:91], v[178:179], s[12:13], v[90:91]
	v_add_f64 v[188:189], v[188:189], v[192:193]
	v_fma_f64 v[182:183], v[174:175], s[2:3], v[182:183]
	v_fma_f64 v[90:91], v[174:175], s[6:7], v[90:91]
	v_add_f64 v[174:175], v[216:217], -v[220:221]
	v_fma_f64 v[228:229], v[188:189], s[0:1], v[182:183]
	v_fma_f64 v[224:225], v[188:189], s[0:1], v[90:91]
	v_add_f64 v[90:91], v[190:191], v[230:231]
	v_add_f64 v[188:189], v[220:221], -v[216:217]
	v_add_f64 v[90:91], v[90:91], v[226:227]
	v_add_f64 v[90:91], v[90:91], v[220:221]
	;; [unrolled: 1-line block ×4, first 2 shown]
	v_fma_f64 v[90:91], v[90:91], -0.5, v[190:191]
	v_fma_f64 v[98:99], v[92:93], s[14:15], v[90:91]
	v_fma_f64 v[90:91], v[92:93], s[12:13], v[90:91]
	;; [unrolled: 1-line block ×3, first 2 shown]
	v_add_f64 v[98:99], v[230:231], -v[226:227]
	v_fma_f64 v[90:91], v[94:95], s[2:3], v[90:91]
	v_add_f64 v[98:99], v[98:99], v[174:175]
	v_fma_f64 v[174:175], v[98:99], s[0:1], v[90:91]
	v_add_f64 v[90:91], v[230:231], v[216:217]
	v_fma_f64 v[182:183], v[98:99], s[0:1], v[96:97]
	v_add_f64 v[98:99], v[226:227], -v[230:231]
	v_fma_f64 v[90:91], v[90:91], -0.5, v[190:191]
	v_add_f64 v[98:99], v[98:99], v[188:189]
	v_add_f64 v[188:189], v[202:203], -v[214:215]
	v_fma_f64 v[96:97], v[94:95], s[12:13], v[90:91]
	v_fma_f64 v[90:91], v[94:95], s[14:15], v[90:91]
	;; [unrolled: 1-line block ×4, first 2 shown]
	v_add_f64 v[92:93], v[222:223], -v[243:244]
	v_fma_f64 v[230:231], v[98:99], s[0:1], v[96:97]
	v_fma_f64 v[226:227], v[98:99], s[0:1], v[90:91]
	v_add_f64 v[90:91], v[184:185], v[218:219]
	v_add_f64 v[96:97], v[238:239], -v[200:201]
	v_add_f64 v[98:99], v[218:219], -v[232:233]
	v_add_f64 v[90:91], v[90:91], v[232:233]
	v_add_f64 v[98:99], v[98:99], v[188:189]
	;; [unrolled: 1-line block ×5, first 2 shown]
	v_fma_f64 v[90:91], v[90:91], -0.5, v[184:185]
	v_fma_f64 v[94:95], v[92:93], s[12:13], v[90:91]
	v_fma_f64 v[90:91], v[92:93], s[14:15], v[90:91]
	;; [unrolled: 1-line block ×6, first 2 shown]
	v_add_f64 v[90:91], v[218:219], v[202:203]
	v_add_f64 v[98:99], v[232:233], -v[218:219]
	v_fma_f64 v[90:91], v[90:91], -0.5, v[184:185]
	v_add_f64 v[184:185], v[214:215], -v[202:203]
	v_fma_f64 v[94:95], v[96:97], s[14:15], v[90:91]
	v_fma_f64 v[90:91], v[96:97], s[12:13], v[90:91]
	v_add_f64 v[98:99], v[98:99], v[184:185]
	v_add_f64 v[96:97], v[232:233], -v[214:215]
	v_add_f64 v[184:185], v[243:244], -v[200:201]
	v_fma_f64 v[94:95], v[92:93], s[2:3], v[94:95]
	v_fma_f64 v[90:91], v[92:93], s[6:7], v[90:91]
	v_add_f64 v[92:93], v[218:219], -v[202:203]
	v_fma_f64 v[220:221], v[98:99], s[0:1], v[94:95]
	v_fma_f64 v[216:217], v[98:99], s[0:1], v[90:91]
	v_add_f64 v[90:91], v[186:187], v[222:223]
	v_add_f64 v[98:99], v[222:223], -v[238:239]
	v_add_f64 v[90:91], v[90:91], v[238:239]
	v_add_f64 v[98:99], v[98:99], v[184:185]
	v_add_f64 v[184:185], v[200:201], -v[243:244]
	v_add_f64 v[90:91], v[90:91], v[200:201]
	v_add_f64 v[210:211], v[90:91], v[243:244]
	;; [unrolled: 1-line block ×3, first 2 shown]
	v_fma_f64 v[90:91], v[90:91], -0.5, v[186:187]
	v_fma_f64 v[94:95], v[92:93], s[14:15], v[90:91]
	v_fma_f64 v[90:91], v[92:93], s[12:13], v[90:91]
	;; [unrolled: 1-line block ×6, first 2 shown]
	v_add_f64 v[90:91], v[222:223], v[243:244]
	v_add_f64 v[98:99], v[238:239], -v[222:223]
	v_fma_f64 v[90:91], v[90:91], -0.5, v[186:187]
	v_add_f64 v[98:99], v[98:99], v[184:185]
	v_add_f64 v[184:185], v[82:83], -v[74:75]
	v_add_f64 v[186:187], v[74:75], -v[82:83]
	v_fma_f64 v[94:95], v[96:97], s[12:13], v[90:91]
	v_fma_f64 v[90:91], v[96:97], s[14:15], v[90:91]
	v_add_f64 v[96:97], v[70:71], -v[78:79]
	v_fma_f64 v[94:95], v[92:93], s[6:7], v[94:95]
	v_fma_f64 v[90:91], v[92:93], s[2:3], v[90:91]
	;; [unrolled: 3-line block ×3, first 2 shown]
	v_add_f64 v[90:91], v[196:197], v[245:246]
	v_add_f64 v[98:99], v[245:246], -v[194:195]
	v_add_f64 v[90:91], v[90:91], v[194:195]
	v_add_f64 v[98:99], v[98:99], v[184:185]
	;; [unrolled: 1-line block ×5, first 2 shown]
	v_add_f64 v[74:75], v[194:195], -v[74:75]
	v_fma_f64 v[90:91], v[90:91], -0.5, v[196:197]
	v_fma_f64 v[94:95], v[92:93], s[12:13], v[90:91]
	v_fma_f64 v[90:91], v[92:93], s[14:15], v[90:91]
	;; [unrolled: 1-line block ×6, first 2 shown]
	v_add_f64 v[90:91], v[245:246], v[82:83]
	v_add_f64 v[98:99], v[194:195], -v[245:246]
	v_add_f64 v[82:83], v[245:246], -v[82:83]
	v_fma_f64 v[90:91], v[90:91], -0.5, v[196:197]
	v_add_f64 v[98:99], v[98:99], v[186:187]
	v_fma_f64 v[94:95], v[96:97], s[14:15], v[90:91]
	v_fma_f64 v[90:91], v[96:97], s[12:13], v[90:91]
	v_add_f64 v[96:97], v[86:87], -v[78:79]
	v_fma_f64 v[94:95], v[92:93], s[2:3], v[94:95]
	v_fma_f64 v[90:91], v[92:93], s[6:7], v[90:91]
	;; [unrolled: 1-line block ×4, first 2 shown]
	v_add_f64 v[90:91], v[198:199], v[66:67]
	v_add_f64 v[94:95], v[66:67], -v[70:71]
	v_add_f64 v[90:91], v[90:91], v[70:71]
	v_add_f64 v[94:95], v[94:95], v[96:97]
	;; [unrolled: 1-line block ×5, first 2 shown]
	v_fma_f64 v[90:91], v[90:91], -0.5, v[198:199]
	v_fma_f64 v[92:93], v[82:83], s[14:15], v[90:91]
	v_fma_f64 v[90:91], v[82:83], s[12:13], v[90:91]
	;; [unrolled: 1-line block ×6, first 2 shown]
	v_add_f64 v[90:91], v[66:67], v[86:87]
	v_add_f64 v[66:67], v[70:71], -v[66:67]
	v_add_f64 v[70:71], v[78:79], -v[86:87]
	v_fma_f64 v[90:91], v[90:91], -0.5, v[198:199]
	v_add_f64 v[66:67], v[66:67], v[70:71]
	v_fma_f64 v[92:93], v[74:75], s[12:13], v[90:91]
	v_fma_f64 v[70:71], v[74:75], s[14:15], v[90:91]
	;; [unrolled: 1-line block ×6, first 2 shown]
	ds_write_b128 v241, v[176:179]
	ds_write_b128 v241, v[180:183] offset:256
	ds_write_b128 v241, v[228:231] offset:512
	ds_write_b128 v241, v[224:227] offset:768
	ds_write_b128 v241, v[172:175] offset:1024
	ds_write_b128 v240, v[208:211]
	ds_write_b128 v240, v[212:215] offset:256
	ds_write_b128 v240, v[220:223] offset:512
	ds_write_b128 v240, v[216:219] offset:768
	ds_write_b128 v240, v[204:207] offset:1024
	;; [unrolled: 5-line block ×3, first 2 shown]
	s_and_saveexec_b32 s16, vcc_lo
	s_cbranch_execz .LBB0_9
; %bb.8:
	s_clause 0x9
	buffer_load_dword v90, off, s[24:27], 0
	buffer_load_dword v91, off, s[24:27], 0 offset:4
	buffer_load_dword v92, off, s[24:27], 0 offset:8
	;; [unrolled: 1-line block ×9, first 2 shown]
	v_mul_f64 v[66:67], v[80:81], v[100:101]
	v_mul_f64 v[78:79], v[88:89], v[104:105]
	;; [unrolled: 1-line block ×4, first 2 shown]
	v_fma_f64 v[66:67], v[68:69], v[102:103], -v[66:67]
	v_fma_f64 v[78:79], v[76:77], v[106:107], -v[78:79]
	v_fma_f64 v[68:69], v[68:69], v[100:101], v[80:81]
	v_fma_f64 v[76:77], v[76:77], v[104:105], v[82:83]
	v_add_f64 v[82:83], v[66:67], v[78:79]
	v_add_f64 v[98:99], v[66:67], -v[78:79]
	v_add_f64 v[88:89], v[68:69], -v[76:77]
	v_fma_f64 v[82:83], v[82:83], -0.5, v[170:171]
	s_waitcnt vmcnt(8)
	v_mul_f64 v[70:71], v[72:73], v[90:91]
	s_waitcnt vmcnt(2)
	v_mul_f64 v[74:75], v[86:87], v[94:95]
	v_mul_f64 v[72:73], v[72:73], v[92:93]
	s_waitcnt vmcnt(0)
	v_mul_f64 v[86:87], v[86:87], v[96:97]
	v_fma_f64 v[70:71], v[64:65], v[92:93], -v[70:71]
	v_fma_f64 v[74:75], v[84:85], v[96:97], -v[74:75]
	v_fma_f64 v[64:65], v[64:65], v[90:91], v[72:73]
	v_fma_f64 v[72:73], v[84:85], v[94:95], v[86:87]
	v_add_f64 v[84:85], v[68:69], v[76:77]
	v_add_f64 v[92:93], v[170:171], v[70:71]
	v_add_f64 v[80:81], v[70:71], v[74:75]
	v_add_f64 v[94:95], v[168:169], v[64:65]
	v_add_f64 v[86:87], v[64:65], v[72:73]
	v_add_f64 v[90:91], v[64:65], -v[72:73]
	v_add_f64 v[96:97], v[70:71], -v[74:75]
	v_fma_f64 v[84:85], v[84:85], -0.5, v[168:169]
	v_add_f64 v[100:101], v[66:67], -v[70:71]
	v_add_f64 v[102:103], v[78:79], -v[74:75]
	;; [unrolled: 1-line block ×6, first 2 shown]
	v_add_f64 v[66:67], v[92:93], v[66:67]
	v_fma_f64 v[80:81], v[80:81], -0.5, v[170:171]
	v_add_f64 v[170:171], v[72:73], -v[76:77]
	v_fma_f64 v[86:87], v[86:87], -0.5, v[168:169]
	v_add_f64 v[168:169], v[76:77], -v[72:73]
	v_add_f64 v[68:69], v[94:95], v[68:69]
	v_fma_f64 v[94:95], v[90:91], s[12:13], v[82:83]
	v_fma_f64 v[82:83], v[90:91], s[14:15], v[82:83]
	;; [unrolled: 1-line block ×4, first 2 shown]
	v_add_f64 v[100:101], v[100:101], v[102:103]
	v_add_f64 v[102:103], v[70:71], v[104:105]
	v_fma_f64 v[92:93], v[88:89], s[14:15], v[80:81]
	v_fma_f64 v[80:81], v[88:89], s[12:13], v[80:81]
	;; [unrolled: 1-line block ×4, first 2 shown]
	v_add_f64 v[104:105], v[106:107], v[168:169]
	v_add_f64 v[106:107], v[64:65], v[170:171]
	;; [unrolled: 1-line block ×4, first 2 shown]
	v_fma_f64 v[78:79], v[88:89], s[2:3], v[94:95]
	v_fma_f64 v[84:85], v[98:99], s[6:7], v[84:85]
	;; [unrolled: 1-line block ×8, first 2 shown]
	v_add_f64 v[66:67], v[64:65], v[74:75]
	v_add_f64 v[64:65], v[68:69], v[72:73]
	v_fma_f64 v[78:79], v[102:103], s[0:1], v[78:79]
	v_fma_f64 v[70:71], v[100:101], s[0:1], v[70:71]
	;; [unrolled: 1-line block ×8, first 2 shown]
	ds_write_b128 v237, v[64:67] offset:19200
	ds_write_b128 v237, v[80:83] offset:19456
	;; [unrolled: 1-line block ×5, first 2 shown]
.LBB0_9:
	s_or_b32 exec_lo, exec_lo, s16
	s_waitcnt lgkmcnt(0)
	s_barrier
	buffer_gl0_inv
	ds_read_b128 v[64:67], v237 offset:1280
	ds_read_b128 v[68:71], v237 offset:2560
	;; [unrolled: 1-line block ×5, first 2 shown]
	ds_read_b128 v[84:87], v237
	ds_read_b128 v[88:91], v237 offset:7680
	ds_read_b128 v[92:95], v237 offset:8960
	;; [unrolled: 1-line block ×10, first 2 shown]
	s_mov_b32 s0, 0x667f3bcd
	s_mov_b32 s1, 0xbfe6a09e
	;; [unrolled: 1-line block ×7, first 2 shown]
	s_waitcnt lgkmcnt(15)
	v_mul_f64 v[188:189], v[134:135], v[66:67]
	v_mul_f64 v[134:135], v[134:135], v[64:65]
	s_waitcnt lgkmcnt(13)
	v_mul_f64 v[192:193], v[114:115], v[74:75]
	v_mul_f64 v[114:115], v[114:115], v[72:73]
	;; [unrolled: 1-line block ×4, first 2 shown]
	s_waitcnt lgkmcnt(11)
	v_mul_f64 v[196:197], v[138:139], v[82:83]
	v_mul_f64 v[138:139], v[138:139], v[80:81]
	s_waitcnt lgkmcnt(9)
	v_mul_f64 v[198:199], v[130:131], v[90:91]
	v_mul_f64 v[130:131], v[130:131], v[88:89]
	s_waitcnt lgkmcnt(7)
	v_mul_f64 v[200:201], v[126:127], v[98:99]
	v_mul_f64 v[126:127], v[126:127], v[96:97]
	s_waitcnt lgkmcnt(5)
	v_mul_f64 v[202:203], v[150:151], v[106:107]
	v_mul_f64 v[150:151], v[150:151], v[104:105]
	s_waitcnt lgkmcnt(4)
	v_mul_f64 v[204:205], v[146:147], v[170:171]
	v_mul_f64 v[146:147], v[146:147], v[168:169]
	v_mul_f64 v[194:195], v[110:111], v[78:79]
	v_mul_f64 v[110:111], v[110:111], v[76:77]
	s_mov_b32 s14, s6
	s_mov_b32 s12, 0xa6aea964
	;; [unrolled: 1-line block ×4, first 2 shown]
	v_fma_f64 v[64:65], v[132:133], v[64:65], v[188:189]
	v_fma_f64 v[66:67], v[132:133], v[66:67], -v[134:135]
	v_fma_f64 v[72:73], v[112:113], v[72:73], v[192:193]
	v_fma_f64 v[74:75], v[112:113], v[74:75], -v[114:115]
	s_waitcnt lgkmcnt(1)
	v_mul_f64 v[112:113], v[162:163], v[182:183]
	v_mul_f64 v[114:115], v[162:163], v[180:181]
	v_fma_f64 v[68:69], v[116:117], v[68:69], v[190:191]
	v_fma_f64 v[70:71], v[116:117], v[70:71], -v[118:119]
	v_mul_f64 v[116:117], v[154:155], v[102:103]
	v_mul_f64 v[118:119], v[154:155], v[100:101]
	;; [unrolled: 1-line block ×4, first 2 shown]
	v_fma_f64 v[80:81], v[136:137], v[80:81], v[196:197]
	v_fma_f64 v[82:83], v[136:137], v[82:83], -v[138:139]
	v_mul_f64 v[136:137], v[142:143], v[174:175]
	v_mul_f64 v[138:139], v[142:143], v[172:173]
	v_fma_f64 v[88:89], v[128:129], v[88:89], v[198:199]
	v_fma_f64 v[90:91], v[128:129], v[90:91], -v[130:131]
	v_mul_f64 v[128:129], v[122:123], v[94:95]
	v_mul_f64 v[122:123], v[122:123], v[92:93]
	s_waitcnt lgkmcnt(0)
	v_mul_f64 v[130:131], v[158:159], v[184:185]
	v_mul_f64 v[142:143], v[158:159], v[186:187]
	v_fma_f64 v[96:97], v[124:125], v[96:97], v[200:201]
	v_fma_f64 v[98:99], v[124:125], v[98:99], -v[126:127]
	v_fma_f64 v[124:125], v[144:145], v[168:169], v[204:205]
	v_fma_f64 v[126:127], v[144:145], v[170:171], -v[146:147]
	;; [unrolled: 2-line block ×8, first 2 shown]
	s_mov_b32 s16, s12
	v_fma_f64 v[92:93], v[120:121], v[92:93], v[128:129]
	v_fma_f64 v[94:95], v[120:121], v[94:95], -v[122:123]
	v_fma_f64 v[120:121], v[156:157], v[186:187], -v[130:131]
	v_fma_f64 v[122:123], v[156:157], v[184:185], v[142:143]
	v_add_f64 v[96:97], v[84:85], -v[96:97]
	v_add_f64 v[98:99], v[86:87], -v[98:99]
	;; [unrolled: 1-line block ×16, first 2 shown]
	v_fma_f64 v[84:85], v[84:85], 2.0, -v[96:97]
	v_fma_f64 v[86:87], v[86:87], 2.0, -v[98:99]
	;; [unrolled: 1-line block ×8, first 2 shown]
	v_add_f64 v[126:127], v[96:97], v[126:127]
	v_add_f64 v[124:125], v[98:99], -v[124:125]
	v_fma_f64 v[80:81], v[80:81], 2.0, -v[116:117]
	v_fma_f64 v[82:83], v[82:83], 2.0, -v[118:119]
	v_add_f64 v[114:115], v[104:105], v[114:115]
	v_add_f64 v[112:113], v[106:107], -v[112:113]
	v_add_f64 v[118:119], v[100:101], v[118:119]
	v_add_f64 v[116:117], v[102:103], -v[116:117]
	v_fma_f64 v[64:65], v[64:65], 2.0, -v[100:101]
	v_fma_f64 v[66:67], v[66:67], 2.0, -v[102:103]
	;; [unrolled: 1-line block ×4, first 2 shown]
	v_add_f64 v[128:129], v[108:109], v[120:121]
	v_add_f64 v[130:131], v[110:111], -v[122:123]
	v_fma_f64 v[92:93], v[92:93], 2.0, -v[122:123]
	v_fma_f64 v[94:95], v[94:95], 2.0, -v[120:121]
	v_add_f64 v[72:73], v[84:85], -v[72:73]
	v_add_f64 v[74:75], v[86:87], -v[74:75]
	;; [unrolled: 1-line block ×4, first 2 shown]
	v_fma_f64 v[96:97], v[96:97], 2.0, -v[126:127]
	v_fma_f64 v[98:99], v[98:99], 2.0, -v[124:125]
	;; [unrolled: 1-line block ×6, first 2 shown]
	v_add_f64 v[80:81], v[64:65], -v[80:81]
	v_add_f64 v[82:83], v[66:67], -v[82:83]
	v_fma_f64 v[120:121], v[114:115], s[2:3], v[126:127]
	v_fma_f64 v[122:123], v[112:113], s[2:3], v[124:125]
	v_fma_f64 v[108:109], v[108:109], 2.0, -v[128:129]
	v_fma_f64 v[110:111], v[110:111], 2.0, -v[130:131]
	v_add_f64 v[92:93], v[76:77], -v[92:93]
	v_add_f64 v[94:95], v[78:79], -v[94:95]
	v_fma_f64 v[84:85], v[84:85], 2.0, -v[72:73]
	v_fma_f64 v[86:87], v[86:87], 2.0, -v[74:75]
	v_fma_f64 v[132:133], v[128:129], s[2:3], v[118:119]
	v_fma_f64 v[134:135], v[130:131], s[2:3], v[116:117]
	v_fma_f64 v[68:69], v[68:69], 2.0, -v[88:89]
	v_fma_f64 v[70:71], v[70:71], 2.0, -v[90:91]
	v_add_f64 v[144:145], v[72:73], v[90:91]
	v_add_f64 v[146:147], v[74:75], -v[88:89]
	v_fma_f64 v[136:137], v[104:105], s[0:1], v[96:97]
	v_fma_f64 v[138:139], v[106:107], s[0:1], v[98:99]
	v_fma_f64 v[64:65], v[64:65], 2.0, -v[80:81]
	v_fma_f64 v[66:67], v[66:67], 2.0, -v[82:83]
	v_fma_f64 v[112:113], v[112:113], s[2:3], v[120:121]
	v_fma_f64 v[114:115], v[114:115], s[0:1], v[122:123]
	;; [unrolled: 1-line block ×4, first 2 shown]
	v_fma_f64 v[76:77], v[76:77], 2.0, -v[92:93]
	v_fma_f64 v[78:79], v[78:79], 2.0, -v[94:95]
	v_fma_f64 v[88:89], v[130:131], s[2:3], v[132:133]
	v_fma_f64 v[90:91], v[128:129], s[0:1], v[134:135]
	v_add_f64 v[148:149], v[84:85], -v[68:69]
	v_add_f64 v[150:151], v[86:87], -v[70:71]
	v_add_f64 v[70:71], v[80:81], v[94:95]
	v_add_f64 v[68:69], v[82:83], -v[92:93]
	v_fma_f64 v[128:129], v[72:73], 2.0, -v[144:145]
	v_fma_f64 v[130:131], v[74:75], 2.0, -v[146:147]
	v_fma_f64 v[120:121], v[106:107], s[2:3], v[136:137]
	v_fma_f64 v[122:123], v[104:105], s[0:1], v[138:139]
	v_fma_f64 v[126:127], v[126:127], 2.0, -v[112:113]
	v_fma_f64 v[124:125], v[124:125], 2.0, -v[114:115]
	v_fma_f64 v[92:93], v[110:111], s[2:3], v[140:141]
	v_fma_f64 v[94:95], v[108:109], s[0:1], v[142:143]
	v_add_f64 v[76:77], v[64:65], -v[76:77]
	v_add_f64 v[78:79], v[66:67], -v[78:79]
	v_fma_f64 v[104:105], v[116:117], 2.0, -v[90:91]
	v_fma_f64 v[108:109], v[84:85], 2.0, -v[148:149]
	;; [unrolled: 1-line block ×6, first 2 shown]
	v_fma_f64 v[72:73], v[70:71], s[2:3], v[144:145]
	v_fma_f64 v[132:133], v[96:97], 2.0, -v[120:121]
	v_fma_f64 v[134:135], v[98:99], 2.0, -v[122:123]
	v_fma_f64 v[74:75], v[68:69], s[2:3], v[146:147]
	v_fma_f64 v[106:107], v[90:91], s[14:15], v[114:115]
	v_fma_f64 v[96:97], v[100:101], 2.0, -v[92:93]
	v_fma_f64 v[98:99], v[102:103], 2.0, -v[94:95]
	v_fma_f64 v[102:103], v[88:89], s[14:15], v[112:113]
	v_fma_f64 v[82:83], v[64:65], 2.0, -v[76:77]
	v_fma_f64 v[100:101], v[66:67], 2.0, -v[78:79]
	v_fma_f64 v[140:141], v[92:93], s[12:13], v[120:121]
	v_fma_f64 v[142:143], v[94:95], s[12:13], v[122:123]
	;; [unrolled: 1-line block ×3, first 2 shown]
	v_add_f64 v[64:65], v[148:149], v[78:79]
	v_add_f64 v[66:67], v[150:151], -v[76:77]
	v_fma_f64 v[116:117], v[84:85], s[0:1], v[128:129]
	v_fma_f64 v[118:119], v[80:81], s[0:1], v[130:131]
	;; [unrolled: 1-line block ×9, first 2 shown]
	v_add_f64 v[76:77], v[108:109], -v[82:83]
	v_add_f64 v[78:79], v[110:111], -v[100:101]
	v_fma_f64 v[88:89], v[94:95], s[14:15], v[140:141]
	v_fma_f64 v[90:91], v[92:93], s[6:7], v[142:143]
	;; [unrolled: 1-line block ×6, first 2 shown]
	v_fma_f64 v[100:101], v[144:145], 2.0, -v[68:69]
	s_mov_b32 s0, 0x9999999a
	s_mov_b32 s1, 0x3f499999
	v_fma_f64 v[102:103], v[146:147], 2.0, -v[70:71]
	v_fma_f64 v[106:107], v[114:115], 2.0, -v[74:75]
	s_mul_i32 s2, s9, 0x500
	s_mul_hi_u32 s3, s8, 0x500
	s_add_i32 s2, s3, s2
	v_fma_f64 v[92:93], v[98:99], s[12:13], v[152:153]
	v_fma_f64 v[94:95], v[96:97], s[16:17], v[154:155]
	v_fma_f64 v[96:97], v[148:149], 2.0, -v[64:65]
	v_fma_f64 v[98:99], v[150:151], 2.0, -v[66:67]
	;; [unrolled: 1-line block ×11, first 2 shown]
	s_mul_i32 s3, s8, 0x500
	v_fma_f64 v[124:125], v[132:133], 2.0, -v[92:93]
	v_fma_f64 v[126:127], v[134:135], 2.0, -v[94:95]
	ds_write_b128 v237, v[64:67] offset:15360
	ds_write_b128 v237, v[68:71] offset:17920
	;; [unrolled: 1-line block ×10, first 2 shown]
	ds_write_b128 v237, v[108:111]
	ds_write_b128 v237, v[112:115] offset:2560
	ds_write_b128 v237, v[116:119] offset:3840
	;; [unrolled: 1-line block ×5, first 2 shown]
	s_waitcnt lgkmcnt(0)
	s_barrier
	buffer_gl0_inv
	ds_read_b128 v[64:67], v237
	s_clause 0x1
	buffer_load_dword v68, off, s[24:27], 0 offset:32
	buffer_load_dword v69, off, s[24:27], 0 offset:36
	v_mad_u64_u32 v[90:91], null, s8, v255, 0
	ds_read_b128 v[72:75], v237 offset:2560
	v_mov_b32_e32 v80, v91
	s_waitcnt lgkmcnt(1)
	v_mul_f64 v[96:97], v[22:23], v[66:67]
	v_mul_f64 v[22:23], v[22:23], v[64:65]
	s_waitcnt lgkmcnt(0)
	v_mul_f64 v[100:101], v[62:63], v[74:75]
	v_mul_f64 v[62:63], v[62:63], v[72:73]
	v_fma_f64 v[64:65], v[20:21], v[64:65], v[96:97]
	v_fma_f64 v[20:21], v[20:21], v[66:67], -v[22:23]
	s_waitcnt vmcnt(1)
	v_mov_b32_e32 v77, v68
	s_waitcnt vmcnt(0)
	ds_read_b128 v[68:71], v237 offset:1280
	v_mad_u64_u32 v[88:89], null, s10, v77, 0
	v_mov_b32_e32 v76, v89
	v_mad_u64_u32 v[91:92], null, s11, v77, v[76:77]
	ds_read_b128 v[76:79], v237 offset:3840
	v_mad_u64_u32 v[92:93], null, s9, v255, v[80:81]
	ds_read_b128 v[80:83], v237 offset:5120
	ds_read_b128 v[84:87], v237 offset:6400
	s_waitcnt lgkmcnt(3)
	v_mul_f64 v[98:99], v[18:19], v[70:71]
	v_mul_f64 v[18:19], v[18:19], v[68:69]
	v_mov_b32_e32 v89, v91
	v_mov_b32_e32 v91, v92
	v_lshlrev_b64 v[102:103], 4, v[88:89]
	v_lshlrev_b64 v[104:105], 4, v[90:91]
	ds_read_b128 v[88:91], v237 offset:7680
	ds_read_b128 v[92:95], v237 offset:8960
	s_waitcnt lgkmcnt(4)
	v_mul_f64 v[106:107], v[58:59], v[78:79]
	v_mul_f64 v[58:59], v[58:59], v[76:77]
	s_waitcnt lgkmcnt(3)
	v_mul_f64 v[108:109], v[50:51], v[82:83]
	v_mul_f64 v[50:51], v[50:51], v[80:81]
	;; [unrolled: 3-line block ×3, first 2 shown]
	v_fma_f64 v[22:23], v[16:17], v[68:69], v[98:99]
	v_fma_f64 v[66:67], v[16:17], v[70:71], -v[18:19]
	v_fma_f64 v[68:69], v[60:61], v[72:73], v[100:101]
	v_fma_f64 v[60:61], v[60:61], v[74:75], -v[62:63]
	v_add_co_u32 v98, vcc_lo, s4, v102
	v_add_co_ci_u32_e32 v99, vcc_lo, s5, v103, vcc_lo
	v_mul_f64 v[16:17], v[64:65], s[0:1]
	v_add_co_u32 v70, vcc_lo, v98, v104
	v_add_co_ci_u32_e32 v71, vcc_lo, v99, v105, vcc_lo
	v_mul_f64 v[18:19], v[20:21], s[0:1]
	s_waitcnt lgkmcnt(1)
	v_mul_f64 v[72:73], v[46:47], v[90:91]
	v_mul_f64 v[74:75], v[46:47], v[88:89]
	v_fma_f64 v[62:63], v[56:57], v[76:77], v[106:107]
	v_fma_f64 v[56:57], v[56:57], v[78:79], -v[58:59]
	v_fma_f64 v[58:59], v[48:49], v[80:81], v[108:109]
	v_fma_f64 v[76:77], v[48:49], v[82:83], -v[50:51]
	;; [unrolled: 2-line block ×3, first 2 shown]
	v_mul_f64 v[20:21], v[22:23], s[0:1]
	v_mul_f64 v[22:23], v[66:67], s[0:1]
	v_add_co_u32 v66, vcc_lo, v70, s3
	s_waitcnt lgkmcnt(0)
	v_mul_f64 v[96:97], v[42:43], v[94:95]
	v_mul_f64 v[42:43], v[42:43], v[92:93]
	v_add_co_ci_u32_e32 v67, vcc_lo, s2, v71, vcc_lo
	v_mul_f64 v[46:47], v[68:69], s[0:1]
	v_mul_f64 v[48:49], v[60:61], s[0:1]
	v_add_co_u32 v68, vcc_lo, v66, s3
	v_add_co_ci_u32_e32 v69, vcc_lo, s2, v67, vcc_lo
	global_store_dwordx4 v[70:71], v[16:19], off
	ds_read_b128 v[50:53], v237 offset:10240
	v_mul_f64 v[54:55], v[62:63], s[0:1]
	v_mul_f64 v[56:57], v[56:57], s[0:1]
	;; [unrolled: 1-line block ×6, first 2 shown]
	v_add_co_u32 v78, vcc_lo, v68, s3
	v_add_co_ci_u32_e32 v79, vcc_lo, s2, v69, vcc_lo
	v_fma_f64 v[72:73], v[44:45], v[88:89], v[72:73]
	v_add_co_u32 v82, vcc_lo, v78, s3
	v_add_co_ci_u32_e32 v83, vcc_lo, s2, v79, vcc_lo
	v_fma_f64 v[44:45], v[44:45], v[90:91], -v[74:75]
	v_add_co_u32 v70, vcc_lo, v82, s3
	v_add_co_ci_u32_e32 v71, vcc_lo, s2, v83, vcc_lo
	v_fma_f64 v[74:75], v[40:41], v[92:93], v[96:97]
	v_fma_f64 v[76:77], v[40:41], v[94:95], -v[42:43]
	ds_read_b128 v[40:43], v237 offset:11520
	global_store_dwordx4 v[66:67], v[20:23], off
	global_store_dwordx4 v[68:69], v[46:49], off
	;; [unrolled: 1-line block ×5, first 2 shown]
	buffer_load_dword v49, off, s[24:27], 0 offset:40 ; 4-byte Folded Reload
	s_waitcnt lgkmcnt(1)
	v_mul_f64 v[80:81], v[38:39], v[52:53]
	v_mul_f64 v[38:39], v[38:39], v[50:51]
	v_add_co_u32 v70, vcc_lo, v70, s3
	v_add_co_ci_u32_e32 v71, vcc_lo, s2, v71, vcc_lo
	v_mul_f64 v[16:17], v[72:73], s[0:1]
	v_mul_f64 v[18:19], v[44:45], s[0:1]
	ds_read_b128 v[44:47], v237 offset:12800
	v_mul_f64 v[20:21], v[74:75], s[0:1]
	v_mul_f64 v[22:23], v[76:77], s[0:1]
	s_waitcnt lgkmcnt(1)
	v_mul_f64 v[72:73], v[14:15], v[42:43]
	v_mul_f64 v[74:75], v[14:15], v[40:41]
	v_add_co_u32 v76, vcc_lo, v70, s3
	v_fma_f64 v[66:67], v[36:37], v[50:51], v[80:81]
	v_fma_f64 v[68:69], v[36:37], v[52:53], -v[38:39]
	ds_read_b128 v[36:39], v237 offset:14080
	v_add_co_ci_u32_e32 v77, vcc_lo, s2, v71, vcc_lo
	s_waitcnt lgkmcnt(1)
	v_mul_f64 v[78:79], v[10:11], v[46:47]
	v_mul_f64 v[10:11], v[10:11], v[44:45]
	v_fma_f64 v[44:45], v[8:9], v[44:45], v[78:79]
	v_fma_f64 v[8:9], v[8:9], v[46:47], -v[10:11]
	v_mul_f64 v[8:9], v[8:9], s[0:1]
	s_waitcnt vmcnt(0)
	v_mad_u64_u32 v[64:65], null, s8, v49, 0
	v_mov_b32_e32 v48, v65
	v_mad_u64_u32 v[14:15], null, s9, v49, v[48:49]
	ds_read_b128 v[48:51], v237 offset:15360
	ds_read_b128 v[52:55], v237 offset:16640
	;; [unrolled: 1-line block ×4, first 2 shown]
	global_store_dwordx4 v[70:71], v[16:19], off
	global_store_dwordx4 v[76:77], v[20:23], off
	s_waitcnt lgkmcnt(4)
	v_mul_f64 v[20:21], v[6:7], v[38:39]
	v_mul_f64 v[6:7], v[6:7], v[36:37]
	v_mov_b32_e32 v65, v14
	v_mul_f64 v[14:15], v[66:67], s[0:1]
	v_mul_f64 v[16:17], v[68:69], s[0:1]
	v_fma_f64 v[22:23], v[12:13], v[40:41], v[72:73]
	v_fma_f64 v[12:13], v[12:13], v[42:43], -v[74:75]
	v_lshlrev_b64 v[18:19], 4, v[64:65]
	v_mad_u64_u32 v[40:41], null, 0xa00, s8, v[76:77]
	s_waitcnt lgkmcnt(3)
	v_mul_f64 v[42:43], v[2:3], v[50:51]
	v_mul_f64 v[64:65], v[2:3], v[48:49]
	s_waitcnt lgkmcnt(2)
	v_mul_f64 v[66:67], v[26:27], v[54:55]
	v_mul_f64 v[26:27], v[26:27], v[52:53]
	;; [unrolled: 3-line block ×4, first 2 shown]
	v_add_co_u32 v2, vcc_lo, v98, v18
	v_add_co_ci_u32_e32 v3, vcc_lo, v99, v19, vcc_lo
	v_mov_b32_e32 v10, v41
	v_fma_f64 v[18:19], v[4:5], v[36:37], v[20:21]
	v_fma_f64 v[20:21], v[4:5], v[38:39], -v[6:7]
	global_store_dwordx4 v[2:3], v[14:17], off
	v_mul_f64 v[2:3], v[22:23], s[0:1]
	v_mad_u64_u32 v[6:7], null, 0xa00, s9, v[10:11]
	v_mul_f64 v[4:5], v[12:13], s[0:1]
	v_fma_f64 v[14:15], v[0:1], v[48:49], v[42:43]
	v_fma_f64 v[0:1], v[0:1], v[50:51], -v[64:65]
	v_fma_f64 v[22:23], v[24:25], v[52:53], v[66:67]
	v_fma_f64 v[24:25], v[24:25], v[54:55], -v[26:27]
	;; [unrolled: 2-line block ×4, first 2 shown]
	v_mov_b32_e32 v41, v6
	v_add_co_u32 v34, vcc_lo, v40, s3
	v_mul_f64 v[6:7], v[44:45], s[0:1]
	v_add_co_ci_u32_e32 v35, vcc_lo, s2, v41, vcc_lo
	v_add_co_u32 v36, vcc_lo, v34, s3
	v_mul_f64 v[10:11], v[18:19], s[0:1]
	v_mul_f64 v[12:13], v[20:21], s[0:1]
	v_add_co_ci_u32_e32 v37, vcc_lo, s2, v35, vcc_lo
	global_store_dwordx4 v[40:41], v[2:5], off
	v_mul_f64 v[14:15], v[14:15], s[0:1]
	v_mul_f64 v[16:17], v[0:1], s[0:1]
	v_mul_f64 v[18:19], v[22:23], s[0:1]
	v_mul_f64 v[20:21], v[24:25], s[0:1]
	v_mul_f64 v[22:23], v[26:27], s[0:1]
	v_mul_f64 v[24:25], v[28:29], s[0:1]
	v_mul_f64 v[26:27], v[30:31], s[0:1]
	v_mul_f64 v[28:29], v[32:33], s[0:1]
	v_add_co_u32 v0, vcc_lo, v36, s3
	v_add_co_ci_u32_e32 v1, vcc_lo, s2, v37, vcc_lo
	global_store_dwordx4 v[34:35], v[6:9], off
	v_add_co_u32 v30, vcc_lo, v0, s3
	v_add_co_ci_u32_e32 v31, vcc_lo, s2, v1, vcc_lo
	v_add_co_u32 v2, vcc_lo, v30, s3
	v_add_co_ci_u32_e32 v3, vcc_lo, s2, v31, vcc_lo
	;; [unrolled: 2-line block ×3, first 2 shown]
	global_store_dwordx4 v[36:37], v[10:13], off
	global_store_dwordx4 v[0:1], v[14:17], off
	;; [unrolled: 1-line block ×5, first 2 shown]
.LBB0_10:
	s_endpgm
	.section	.rodata,"a",@progbits
	.p2align	6, 0x0
	.amdhsa_kernel bluestein_single_fwd_len1280_dim1_dp_op_CI_CI
		.amdhsa_group_segment_fixed_size 20480
		.amdhsa_private_segment_fixed_size 56
		.amdhsa_kernarg_size 104
		.amdhsa_user_sgpr_count 6
		.amdhsa_user_sgpr_private_segment_buffer 1
		.amdhsa_user_sgpr_dispatch_ptr 0
		.amdhsa_user_sgpr_queue_ptr 0
		.amdhsa_user_sgpr_kernarg_segment_ptr 1
		.amdhsa_user_sgpr_dispatch_id 0
		.amdhsa_user_sgpr_flat_scratch_init 0
		.amdhsa_user_sgpr_private_segment_size 0
		.amdhsa_wavefront_size32 1
		.amdhsa_uses_dynamic_stack 0
		.amdhsa_system_sgpr_private_segment_wavefront_offset 1
		.amdhsa_system_sgpr_workgroup_id_x 1
		.amdhsa_system_sgpr_workgroup_id_y 0
		.amdhsa_system_sgpr_workgroup_id_z 0
		.amdhsa_system_sgpr_workgroup_info 0
		.amdhsa_system_vgpr_workitem_id 0
		.amdhsa_next_free_vgpr 256
		.amdhsa_next_free_sgpr 28
		.amdhsa_reserve_vcc 1
		.amdhsa_reserve_flat_scratch 0
		.amdhsa_float_round_mode_32 0
		.amdhsa_float_round_mode_16_64 0
		.amdhsa_float_denorm_mode_32 3
		.amdhsa_float_denorm_mode_16_64 3
		.amdhsa_dx10_clamp 1
		.amdhsa_ieee_mode 1
		.amdhsa_fp16_overflow 0
		.amdhsa_workgroup_processor_mode 1
		.amdhsa_memory_ordered 1
		.amdhsa_forward_progress 0
		.amdhsa_shared_vgpr_count 0
		.amdhsa_exception_fp_ieee_invalid_op 0
		.amdhsa_exception_fp_denorm_src 0
		.amdhsa_exception_fp_ieee_div_zero 0
		.amdhsa_exception_fp_ieee_overflow 0
		.amdhsa_exception_fp_ieee_underflow 0
		.amdhsa_exception_fp_ieee_inexact 0
		.amdhsa_exception_int_div_zero 0
	.end_amdhsa_kernel
	.text
.Lfunc_end0:
	.size	bluestein_single_fwd_len1280_dim1_dp_op_CI_CI, .Lfunc_end0-bluestein_single_fwd_len1280_dim1_dp_op_CI_CI
                                        ; -- End function
	.section	.AMDGPU.csdata,"",@progbits
; Kernel info:
; codeLenInByte = 17800
; NumSgprs: 30
; NumVgprs: 256
; ScratchSize: 56
; MemoryBound: 0
; FloatMode: 240
; IeeeMode: 1
; LDSByteSize: 20480 bytes/workgroup (compile time only)
; SGPRBlocks: 3
; VGPRBlocks: 31
; NumSGPRsForWavesPerEU: 30
; NumVGPRsForWavesPerEU: 256
; Occupancy: 4
; WaveLimiterHint : 1
; COMPUTE_PGM_RSRC2:SCRATCH_EN: 1
; COMPUTE_PGM_RSRC2:USER_SGPR: 6
; COMPUTE_PGM_RSRC2:TRAP_HANDLER: 0
; COMPUTE_PGM_RSRC2:TGID_X_EN: 1
; COMPUTE_PGM_RSRC2:TGID_Y_EN: 0
; COMPUTE_PGM_RSRC2:TGID_Z_EN: 0
; COMPUTE_PGM_RSRC2:TIDIG_COMP_CNT: 0
	.text
	.p2alignl 6, 3214868480
	.fill 48, 4, 3214868480
	.type	__hip_cuid_1594dce7b95f1327,@object ; @__hip_cuid_1594dce7b95f1327
	.section	.bss,"aw",@nobits
	.globl	__hip_cuid_1594dce7b95f1327
__hip_cuid_1594dce7b95f1327:
	.byte	0                               ; 0x0
	.size	__hip_cuid_1594dce7b95f1327, 1

	.ident	"AMD clang version 19.0.0git (https://github.com/RadeonOpenCompute/llvm-project roc-6.4.0 25133 c7fe45cf4b819c5991fe208aaa96edf142730f1d)"
	.section	".note.GNU-stack","",@progbits
	.addrsig
	.addrsig_sym __hip_cuid_1594dce7b95f1327
	.amdgpu_metadata
---
amdhsa.kernels:
  - .args:
      - .actual_access:  read_only
        .address_space:  global
        .offset:         0
        .size:           8
        .value_kind:     global_buffer
      - .actual_access:  read_only
        .address_space:  global
        .offset:         8
        .size:           8
        .value_kind:     global_buffer
      - .actual_access:  read_only
        .address_space:  global
        .offset:         16
        .size:           8
        .value_kind:     global_buffer
      - .actual_access:  read_only
        .address_space:  global
        .offset:         24
        .size:           8
        .value_kind:     global_buffer
      - .actual_access:  read_only
        .address_space:  global
        .offset:         32
        .size:           8
        .value_kind:     global_buffer
      - .offset:         40
        .size:           8
        .value_kind:     by_value
      - .address_space:  global
        .offset:         48
        .size:           8
        .value_kind:     global_buffer
      - .address_space:  global
        .offset:         56
        .size:           8
        .value_kind:     global_buffer
      - .address_space:  global
        .offset:         64
        .size:           8
        .value_kind:     global_buffer
      - .address_space:  global
        .offset:         72
        .size:           8
        .value_kind:     global_buffer
      - .offset:         80
        .size:           4
        .value_kind:     by_value
      - .address_space:  global
        .offset:         88
        .size:           8
        .value_kind:     global_buffer
      - .address_space:  global
        .offset:         96
        .size:           8
        .value_kind:     global_buffer
    .group_segment_fixed_size: 20480
    .kernarg_segment_align: 8
    .kernarg_segment_size: 104
    .language:       OpenCL C
    .language_version:
      - 2
      - 0
    .max_flat_workgroup_size: 80
    .name:           bluestein_single_fwd_len1280_dim1_dp_op_CI_CI
    .private_segment_fixed_size: 56
    .sgpr_count:     30
    .sgpr_spill_count: 0
    .symbol:         bluestein_single_fwd_len1280_dim1_dp_op_CI_CI.kd
    .uniform_work_group_size: 1
    .uses_dynamic_stack: false
    .vgpr_count:     256
    .vgpr_spill_count: 21
    .wavefront_size: 32
    .workgroup_processor_mode: 1
amdhsa.target:   amdgcn-amd-amdhsa--gfx1030
amdhsa.version:
  - 1
  - 2
...

	.end_amdgpu_metadata
